;; amdgpu-corpus repo=ROCm/rocFFT kind=compiled arch=gfx906 opt=O3
	.text
	.amdgcn_target "amdgcn-amd-amdhsa--gfx906"
	.amdhsa_code_object_version 6
	.protected	bluestein_single_fwd_len352_dim1_sp_op_CI_CI ; -- Begin function bluestein_single_fwd_len352_dim1_sp_op_CI_CI
	.globl	bluestein_single_fwd_len352_dim1_sp_op_CI_CI
	.p2align	8
	.type	bluestein_single_fwd_len352_dim1_sp_op_CI_CI,@function
bluestein_single_fwd_len352_dim1_sp_op_CI_CI: ; @bluestein_single_fwd_len352_dim1_sp_op_CI_CI
; %bb.0:
	s_load_dwordx4 s[12:15], s[4:5], 0x28
	v_lshrrev_b32_e32 v1, 5, v0
	v_mov_b32_e32 v21, 0
	v_lshl_or_b32 v78, s6, 1, v1
	v_mov_b32_e32 v79, v21
	s_waitcnt lgkmcnt(0)
	v_cmp_gt_u64_e32 vcc, s[12:13], v[78:79]
	s_and_saveexec_b64 s[0:1], vcc
	s_cbranch_execz .LBB0_18
; %bb.1:
	s_load_dwordx4 s[0:3], s[4:5], 0x18
	s_load_dwordx4 s[8:11], s[4:5], 0x0
	v_and_b32_e32 v99, 31, v0
	v_lshlrev_b32_e32 v102, 3, v99
	v_and_b32_e32 v0, 32, v0
	s_waitcnt lgkmcnt(0)
	s_load_dwordx4 s[16:19], s[0:1], 0x0
	global_load_dwordx2 v[58:59], v102, s[8:9]
	s_load_dwordx2 s[12:13], s[4:5], 0x38
	v_or_b32_e32 v20, 0xa0, v99
	s_waitcnt lgkmcnt(0)
	v_mad_u64_u32 v[1:2], s[0:1], s18, v78, 0
	v_mad_u64_u32 v[3:4], s[0:1], s16, v99, 0
	v_mad_u64_u32 v[5:6], s[0:1], s19, v78, v[2:3]
	v_mad_u64_u32 v[6:7], s[0:1], s17, v99, v[4:5]
	v_mov_b32_e32 v2, v5
	v_lshlrev_b64 v[1:2], 3, v[1:2]
	v_mov_b32_e32 v4, v6
	v_mov_b32_e32 v7, s15
	v_lshlrev_b64 v[3:4], 3, v[3:4]
	v_add_co_u32_e32 v1, vcc, s14, v1
	v_addc_co_u32_e32 v2, vcc, v7, v2, vcc
	v_add_co_u32_e32 v1, vcc, v1, v3
	v_addc_co_u32_e32 v2, vcc, v2, v4, vcc
	s_lshl_b64 s[0:1], s[16:17], 8
	global_load_dwordx2 v[3:4], v[1:2], off
	v_mov_b32_e32 v19, s1
	v_add_co_u32_e32 v1, vcc, s0, v1
	v_addc_co_u32_e32 v2, vcc, v2, v19, vcc
	global_load_dwordx2 v[5:6], v[1:2], off
	v_add_co_u32_e32 v1, vcc, s0, v1
	v_addc_co_u32_e32 v2, vcc, v2, v19, vcc
	v_add_co_u32_e32 v7, vcc, s0, v1
	v_addc_co_u32_e32 v8, vcc, v2, v19, vcc
	;; [unrolled: 2-line block ×3, first 2 shown]
	global_load_dwordx2 v[76:77], v102, s[8:9] offset:256
	global_load_dwordx2 v[70:71], v102, s[8:9] offset:512
	;; [unrolled: 1-line block ×3, first 2 shown]
	global_load_dwordx2 v[11:12], v[1:2], off
	global_load_dwordx2 v[13:14], v[7:8], off
	;; [unrolled: 1-line block ×3, first 2 shown]
	v_add_co_u32_e32 v1, vcc, s0, v9
	v_addc_co_u32_e32 v2, vcc, v10, v19, vcc
	global_load_dwordx2 v[7:8], v[1:2], off
	global_load_dwordx2 v[72:73], v102, s[8:9] offset:1024
	global_load_dwordx2 v[60:61], v102, s[8:9] offset:1280
	v_add_co_u32_e32 v1, vcc, s0, v1
	v_addc_co_u32_e32 v2, vcc, v2, v19, vcc
	global_load_dwordx2 v[9:10], v[1:2], off
	v_add_co_u32_e32 v1, vcc, s0, v1
	v_addc_co_u32_e32 v2, vcc, v2, v19, vcc
	global_load_dwordx2 v[17:18], v[1:2], off
	global_load_dwordx2 v[74:75], v102, s[8:9] offset:1536
	global_load_dwordx2 v[62:63], v102, s[8:9] offset:1792
	v_add_co_u32_e32 v1, vcc, s0, v1
	v_addc_co_u32_e32 v2, vcc, v2, v19, vcc
	global_load_dwordx2 v[22:23], v[1:2], off
	global_load_dwordx2 v[68:69], v102, s[8:9] offset:2048
	v_add_co_u32_e32 v1, vcc, s0, v1
	v_addc_co_u32_e32 v2, vcc, v2, v19, vcc
	global_load_dwordx2 v[24:25], v[1:2], off
	global_load_dwordx2 v[64:65], v102, s[8:9] offset:2304
	v_add_co_u32_e32 v1, vcc, s0, v1
	v_addc_co_u32_e32 v2, vcc, v2, v19, vcc
	global_load_dwordx2 v[66:67], v102, s[8:9] offset:2560
	global_load_dwordx2 v[26:27], v[1:2], off
	v_mov_b32_e32 v1, 0x160
	v_cmp_ne_u32_e32 vcc, 0, v0
	v_cndmask_b32_e32 v105, 0, v1, vcc
	v_or_b32_e32 v0, v105, v99
	v_lshlrev_b32_e32 v101, 3, v0
	v_lshl_or_b32 v100, v105, 3, v102
	v_add_u32_e32 v19, 0x800, v100
	s_load_dwordx4 s[4:7], s[2:3], 0x0
	s_mov_b32 s2, 0x3f575c64
	s_mov_b32 s0, 0x3ed4b147
	;; [unrolled: 1-line block ×5, first 2 shown]
	s_waitcnt vmcnt(20)
	v_mul_f32_e32 v0, v4, v59
	v_mul_f32_e32 v1, v3, v59
	v_fmac_f32_e32 v0, v3, v58
	v_fma_f32 v1, v4, v58, -v1
	ds_write_b64 v101, v[0:1]
	s_waitcnt vmcnt(18)
	v_mul_f32_e32 v0, v5, v77
	v_mul_f32_e32 v2, v6, v77
	v_fma_f32 v3, v6, v76, -v0
	s_waitcnt vmcnt(15)
	v_mul_f32_e32 v0, v12, v71
	v_mul_f32_e32 v1, v11, v71
	v_fmac_f32_e32 v2, v5, v76
	v_fmac_f32_e32 v0, v11, v70
	v_fma_f32 v1, v12, v70, -v1
	ds_write2_b64 v100, v[2:3], v[0:1] offset0:32 offset1:64
	s_waitcnt vmcnt(14)
	v_mul_f32_e32 v0, v14, v57
	v_mul_f32_e32 v1, v13, v57
	s_waitcnt vmcnt(11)
	v_mul_f32_e32 v2, v16, v73
	v_mul_f32_e32 v3, v15, v73
	v_fmac_f32_e32 v0, v13, v56
	v_fma_f32 v1, v14, v56, -v1
	v_fmac_f32_e32 v2, v15, v72
	v_fma_f32 v3, v16, v72, -v3
	ds_write2_b64 v100, v[0:1], v[2:3] offset0:96 offset1:128
	s_waitcnt vmcnt(10)
	v_mul_f32_e32 v0, v8, v61
	v_mul_f32_e32 v1, v7, v61
	s_waitcnt vmcnt(7)
	v_mul_f32_e32 v2, v10, v75
	v_mul_f32_e32 v3, v9, v75
	v_fmac_f32_e32 v0, v7, v60
	v_fma_f32 v1, v8, v60, -v1
	v_fmac_f32_e32 v2, v9, v74
	v_fma_f32 v3, v10, v74, -v3
	ds_write2_b64 v100, v[0:1], v[2:3] offset0:160 offset1:192
	s_waitcnt vmcnt(6)
	v_mul_f32_e32 v0, v18, v63
	v_mul_f32_e32 v1, v17, v63
	s_waitcnt vmcnt(4)
	v_mul_f32_e32 v3, v23, v69
	v_mul_f32_e32 v2, v22, v69
	v_fmac_f32_e32 v0, v17, v62
	v_fma_f32 v1, v18, v62, -v1
	v_fmac_f32_e32 v3, v22, v68
	v_fma_f32 v4, v23, v68, -v2
	v_add_u32_e32 v2, 0x400, v100
	ds_write2_b64 v2, v[0:1], v[3:4] offset0:96 offset1:128
	s_waitcnt vmcnt(2)
	v_mul_f32_e32 v0, v25, v65
	v_mul_f32_e32 v1, v24, v65
	s_waitcnt vmcnt(0)
	v_mul_f32_e32 v3, v27, v67
	v_mul_f32_e32 v4, v26, v67
	v_fmac_f32_e32 v0, v24, v64
	v_fma_f32 v1, v25, v64, -v1
	v_fmac_f32_e32 v3, v26, v66
	v_fma_f32 v4, v27, v66, -v4
	ds_write2_b64 v19, v[0:1], v[3:4] offset0:32 offset1:64
	s_waitcnt lgkmcnt(0)
	; wave barrier
	s_waitcnt lgkmcnt(0)
	ds_read_b64 v[0:1], v101
	ds_read2_b64 v[3:6], v100 offset0:32 offset1:64
	ds_read2_b64 v[7:10], v100 offset0:96 offset1:128
	;; [unrolled: 1-line block ×5, first 2 shown]
	s_waitcnt lgkmcnt(4)
	v_add_f32_e32 v19, v0, v3
	v_add_f32_e32 v26, v1, v4
	v_add_f32_e32 v19, v19, v5
	v_add_f32_e32 v26, v26, v6
	s_waitcnt lgkmcnt(3)
	v_add_f32_e32 v19, v19, v7
	v_add_f32_e32 v26, v26, v8
	v_add_f32_e32 v19, v19, v9
	v_add_f32_e32 v26, v26, v10
	;; [unrolled: 5-line block ×5, first 2 shown]
	v_add_f32_e32 v28, v25, v4
	v_sub_f32_e32 v3, v3, v24
	v_sub_f32_e32 v4, v4, v25
	v_mul_f32_e32 v24, 0xbf0a6770, v4
	v_mul_f32_e32 v29, 0xbf0a6770, v3
	;; [unrolled: 1-line block ×10, first 2 shown]
	v_add_f32_e32 v27, v27, v25
	v_fma_f32 v25, v19, s2, -v24
	v_mov_b32_e32 v30, v29
	v_fmac_f32_e32 v24, 0x3f575c64, v19
	v_fma_f32 v32, v19, s0, -v31
	v_mov_b32_e32 v34, v33
	v_fmac_f32_e32 v31, 0x3ed4b147, v19
	;; [unrolled: 3-line block ×5, first 2 shown]
	v_add_f32_e32 v25, v0, v25
	v_fmac_f32_e32 v30, 0x3f575c64, v28
	v_add_f32_e32 v24, v0, v24
	v_fma_f32 v29, v28, s2, -v29
	v_add_f32_e32 v32, v0, v32
	v_fmac_f32_e32 v34, 0x3ed4b147, v28
	v_add_f32_e32 v31, v0, v31
	v_fma_f32 v33, v28, s0, -v33
	;; [unrolled: 4-line block ×5, first 2 shown]
	v_add_f32_e32 v4, v23, v6
	v_sub_f32_e32 v6, v6, v23
	v_add_f32_e32 v30, v1, v30
	v_add_f32_e32 v29, v1, v29
	;; [unrolled: 1-line block ×11, first 2 shown]
	v_mul_f32_e32 v19, 0xbf68dda4, v6
	v_sub_f32_e32 v5, v5, v22
	v_fma_f32 v22, v3, s0, -v19
	v_fmac_f32_e32 v19, 0x3ed4b147, v3
	v_mul_f32_e32 v23, 0xbf68dda4, v5
	v_add_f32_e32 v19, v19, v24
	v_mul_f32_e32 v24, 0xbf4178ce, v6
	v_add_f32_e32 v22, v22, v25
	v_mov_b32_e32 v25, v23
	v_fma_f32 v23, v4, s0, -v23
	v_fma_f32 v28, v3, s3, -v24
	v_fmac_f32_e32 v24, 0xbf27a4f4, v3
	v_fmac_f32_e32 v25, 0x3ed4b147, v4
	v_add_f32_e32 v23, v23, v29
	v_mul_f32_e32 v29, 0xbf4178ce, v5
	v_add_f32_e32 v24, v24, v31
	v_mul_f32_e32 v31, 0x3e903f40, v6
	v_add_f32_e32 v25, v25, v30
	v_add_f32_e32 v28, v28, v32
	v_mov_b32_e32 v30, v29
	v_fma_f32 v29, v4, s3, -v29
	v_fma_f32 v32, v3, s14, -v31
	v_fmac_f32_e32 v31, 0xbf75a155, v3
	v_fmac_f32_e32 v30, 0xbf27a4f4, v4
	v_add_f32_e32 v29, v29, v33
	v_mul_f32_e32 v33, 0x3e903f40, v5
	v_add_f32_e32 v31, v31, v35
	v_mul_f32_e32 v35, 0x3f7d64f0, v6
	v_add_f32_e32 v30, v30, v34
	v_add_f32_e32 v32, v32, v36
	v_mov_b32_e32 v34, v33
	v_fma_f32 v33, v4, s14, -v33
	v_fma_f32 v36, v3, s1, -v35
	v_fmac_f32_e32 v35, 0xbe11bafb, v3
	v_mul_f32_e32 v6, 0x3f0a6770, v6
	v_add_f32_e32 v33, v33, v37
	v_mul_f32_e32 v37, 0x3f7d64f0, v5
	v_add_f32_e32 v35, v35, v39
	v_fma_f32 v39, v3, s2, -v6
	v_mul_f32_e32 v5, 0x3f0a6770, v5
	v_fmac_f32_e32 v6, 0x3f575c64, v3
	v_fmac_f32_e32 v34, 0xbf75a155, v4
	v_add_f32_e32 v0, v6, v0
	v_fma_f32 v3, v4, s2, -v5
	v_sub_f32_e32 v6, v8, v18
	v_add_f32_e32 v34, v34, v38
	v_add_f32_e32 v36, v36, v40
	v_mov_b32_e32 v38, v37
	v_mov_b32_e32 v40, v5
	v_add_f32_e32 v1, v3, v1
	v_add_f32_e32 v3, v17, v7
	v_sub_f32_e32 v5, v7, v17
	v_mul_f32_e32 v7, 0xbf7d64f0, v6
	v_fmac_f32_e32 v38, 0xbe11bafb, v4
	v_fma_f32 v37, v4, s1, -v37
	v_fmac_f32_e32 v40, 0x3f575c64, v4
	v_add_f32_e32 v4, v18, v8
	v_fma_f32 v8, v3, s1, -v7
	v_fmac_f32_e32 v7, 0xbe11bafb, v3
	v_mul_f32_e32 v17, 0xbf7d64f0, v5
	v_add_f32_e32 v7, v7, v19
	v_mul_f32_e32 v19, 0x3e903f40, v6
	v_add_f32_e32 v8, v8, v22
	v_mov_b32_e32 v18, v17
	v_fma_f32 v17, v4, s1, -v17
	v_fma_f32 v22, v3, s14, -v19
	v_fmac_f32_e32 v19, 0xbf75a155, v3
	v_fmac_f32_e32 v18, 0xbe11bafb, v4
	v_add_f32_e32 v17, v17, v23
	v_mul_f32_e32 v23, 0x3e903f40, v5
	v_add_f32_e32 v19, v19, v24
	v_mul_f32_e32 v24, 0x3f68dda4, v6
	v_add_f32_e32 v18, v18, v25
	v_add_f32_e32 v22, v22, v28
	v_mov_b32_e32 v25, v23
	v_fma_f32 v23, v4, s14, -v23
	v_fma_f32 v28, v3, s0, -v24
	v_fmac_f32_e32 v24, 0x3ed4b147, v3
	v_fmac_f32_e32 v25, 0xbf75a155, v4
	v_add_f32_e32 v23, v23, v29
	v_mul_f32_e32 v29, 0x3f68dda4, v5
	v_add_f32_e32 v24, v24, v31
	v_mul_f32_e32 v31, 0xbf0a6770, v6
	v_add_f32_e32 v25, v25, v30
	v_add_f32_e32 v28, v28, v32
	v_mov_b32_e32 v30, v29
	v_fma_f32 v29, v4, s0, -v29
	v_fma_f32 v32, v3, s2, -v31
	v_fmac_f32_e32 v31, 0x3f575c64, v3
	v_mul_f32_e32 v6, 0xbf4178ce, v6
	v_add_f32_e32 v29, v29, v33
	v_mul_f32_e32 v33, 0xbf0a6770, v5
	v_add_f32_e32 v31, v31, v35
	v_fma_f32 v35, v3, s3, -v6
	v_mul_f32_e32 v5, 0xbf4178ce, v5
	v_fmac_f32_e32 v6, 0xbf27a4f4, v3
	v_fmac_f32_e32 v30, 0x3ed4b147, v4
	v_add_f32_e32 v0, v6, v0
	v_fma_f32 v3, v4, s3, -v5
	v_sub_f32_e32 v6, v10, v16
	v_add_f32_e32 v30, v30, v34
	v_add_f32_e32 v32, v32, v36
	v_mov_b32_e32 v34, v33
	v_mov_b32_e32 v36, v5
	v_add_f32_e32 v1, v3, v1
	v_add_f32_e32 v3, v15, v9
	v_sub_f32_e32 v5, v9, v15
	v_mul_f32_e32 v9, 0xbf4178ce, v6
	v_fmac_f32_e32 v34, 0x3f575c64, v4
	v_fma_f32 v33, v4, s2, -v33
	v_fmac_f32_e32 v36, 0xbf27a4f4, v4
	v_add_f32_e32 v4, v16, v10
	v_fma_f32 v10, v3, s3, -v9
	v_add_f32_e32 v8, v10, v8
	v_mul_f32_e32 v10, 0xbf4178ce, v5
	v_fmac_f32_e32 v9, 0xbf27a4f4, v3
	v_mov_b32_e32 v15, v10
	v_add_f32_e32 v7, v9, v7
	v_fma_f32 v9, v4, s3, -v10
	v_mul_f32_e32 v10, 0x3f7d64f0, v6
	v_fmac_f32_e32 v15, 0xbf27a4f4, v4
	v_add_f32_e32 v9, v9, v17
	v_fma_f32 v16, v3, s1, -v10
	v_mul_f32_e32 v17, 0x3f7d64f0, v5
	v_fmac_f32_e32 v10, 0xbe11bafb, v3
	v_add_f32_e32 v15, v15, v18
	v_mov_b32_e32 v18, v17
	v_add_f32_e32 v10, v10, v19
	v_fma_f32 v17, v4, s1, -v17
	v_mul_f32_e32 v19, 0xbf0a6770, v6
	v_add_f32_e32 v16, v16, v22
	v_fmac_f32_e32 v18, 0xbe11bafb, v4
	v_add_f32_e32 v17, v17, v23
	v_fma_f32 v22, v3, s2, -v19
	v_mul_f32_e32 v23, 0xbf0a6770, v5
	v_fmac_f32_e32 v19, 0x3f575c64, v3
	v_add_f32_e32 v18, v18, v25
	v_mov_b32_e32 v25, v23
	v_add_f32_e32 v19, v19, v24
	v_fma_f32 v23, v4, s2, -v23
	v_mul_f32_e32 v24, 0xbe903f40, v6
	v_add_f32_e32 v37, v37, v41
	v_add_f32_e32 v22, v22, v28
	v_fmac_f32_e32 v25, 0x3f575c64, v4
	v_add_f32_e32 v23, v23, v29
	v_fma_f32 v28, v3, s14, -v24
	v_mul_f32_e32 v29, 0xbe903f40, v5
	v_fmac_f32_e32 v24, 0xbf75a155, v3
	v_mul_f32_e32 v6, 0x3f68dda4, v6
	v_add_f32_e32 v38, v38, v42
	v_add_f32_e32 v39, v39, v43
	;; [unrolled: 1-line block ×4, first 2 shown]
	v_mov_b32_e32 v30, v29
	v_add_f32_e32 v24, v24, v31
	v_fma_f32 v29, v4, s14, -v29
	v_fma_f32 v31, v3, s0, -v6
	v_mul_f32_e32 v5, 0x3f68dda4, v5
	v_fmac_f32_e32 v6, 0x3ed4b147, v3
	v_add_f32_e32 v34, v34, v38
	v_add_f32_e32 v35, v35, v39
	v_fmac_f32_e32 v30, 0xbf75a155, v4
	v_add_f32_e32 v29, v29, v33
	v_add_f32_e32 v33, v6, v0
	v_fma_f32 v0, v4, s0, -v5
	v_sub_f32_e32 v38, v12, v14
	v_add_f32_e32 v40, v40, v44
	v_add_f32_e32 v28, v28, v32
	;; [unrolled: 1-line block ×4, first 2 shown]
	v_mov_b32_e32 v32, v5
	v_add_f32_e32 v34, v0, v1
	v_add_f32_e32 v35, v13, v11
	v_mul_f32_e32 v0, 0xbe903f40, v38
	v_add_f32_e32 v36, v36, v40
	v_fmac_f32_e32 v32, 0x3ed4b147, v4
	v_sub_f32_e32 v37, v11, v13
	v_fma_f32 v1, v35, s14, -v0
	v_add_f32_e32 v32, v32, v36
	v_add_f32_e32 v36, v14, v12
	;; [unrolled: 1-line block ×3, first 2 shown]
	v_mul_f32_e32 v1, 0xbe903f40, v37
	v_fmac_f32_e32 v0, 0xbf75a155, v35
	v_mov_b32_e32 v4, v1
	v_add_f32_e32 v0, v0, v7
	v_fma_f32 v1, v36, s14, -v1
	v_mul_f32_e32 v7, 0x3f0a6770, v38
	v_mul_f32_e32 v11, 0xbf4178ce, v38
	v_add_f32_e32 v1, v1, v9
	v_fma_f32 v5, v35, s2, -v7
	v_mul_f32_e32 v8, 0x3f0a6770, v37
	v_fmac_f32_e32 v7, 0x3f575c64, v35
	v_fma_f32 v9, v35, s3, -v11
	v_mul_f32_e32 v12, 0xbf4178ce, v37
	v_fmac_f32_e32 v11, 0xbf27a4f4, v35
	v_mov_b32_e32 v6, v8
	v_add_f32_e32 v7, v7, v10
	v_fma_f32 v8, v36, s2, -v8
	v_mov_b32_e32 v10, v12
	v_add_f32_e32 v11, v11, v19
	v_fma_f32 v12, v36, s3, -v12
	v_mul_f32_e32 v19, 0xbf7d64f0, v38
	v_fmac_f32_e32 v4, 0xbf75a155, v36
	v_add_f32_e32 v5, v5, v16
	v_fmac_f32_e32 v6, 0x3f575c64, v36
	v_add_f32_e32 v8, v8, v17
	v_add_f32_e32 v12, v12, v23
	v_mul_f32_e32 v16, 0x3f68dda4, v37
	v_fma_f32 v17, v35, s1, -v19
	v_mul_f32_e32 v23, 0xbf7d64f0, v37
	v_fmac_f32_e32 v19, 0xbe11bafb, v35
	v_add_f32_e32 v4, v4, v15
	v_add_f32_e32 v6, v6, v18
	;; [unrolled: 1-line block ×3, first 2 shown]
	v_mul_f32_e32 v15, 0x3f68dda4, v38
	v_mov_b32_e32 v14, v16
	v_mov_b32_e32 v18, v23
	v_add_f32_e32 v22, v19, v33
	v_fma_f32 v19, v36, s1, -v23
	v_fmac_f32_e32 v10, 0xbf27a4f4, v36
	v_fma_f32 v13, v35, s0, -v15
	v_fmac_f32_e32 v14, 0x3ed4b147, v36
	v_fmac_f32_e32 v15, 0x3ed4b147, v35
	v_fma_f32 v16, v36, s0, -v16
	v_fmac_f32_e32 v18, 0xbe11bafb, v36
	v_add_f32_e32 v23, v19, v34
	v_mul_u32_u24_e32 v19, 11, v99
	v_add_f32_e32 v10, v10, v25
	v_add_f32_e32 v13, v13, v28
	v_add_f32_e32 v14, v14, v30
	v_add_f32_e32 v15, v15, v24
	v_add_f32_e32 v16, v16, v29
	v_add_f32_e32 v17, v17, v31
	v_add_f32_e32 v18, v18, v32
	v_add_lshl_u32 v103, v105, v19, 3
	s_waitcnt lgkmcnt(0)
	; wave barrier
	ds_write2_b64 v103, v[26:27], v[3:4] offset1:1
	ds_write2_b64 v103, v[5:6], v[9:10] offset0:2 offset1:3
	ds_write2_b64 v103, v[13:14], v[17:18] offset0:4 offset1:5
	;; [unrolled: 1-line block ×4, first 2 shown]
	ds_write_b64 v103, v[0:1] offset:80
	s_waitcnt lgkmcnt(0)
	; wave barrier
	s_waitcnt lgkmcnt(0)
	ds_read2_b64 v[16:19], v100 offset0:176 offset1:208
	ds_read2_b64 v[8:11], v100 offset0:32 offset1:64
	;; [unrolled: 1-line block ×4, first 2 shown]
	ds_read_b64 v[22:23], v101
	ds_read_b64 v[24:25], v100 offset:2432
	s_mov_b64 s[0:1], 0xb0
	v_cmp_gt_u64_e32 vcc, s[0:1], v[20:21]
	s_and_saveexec_b64 s[0:1], vcc
	s_cbranch_execz .LBB0_3
; %bb.2:
	ds_read2_b64 v[0:3], v2 offset0:32 offset1:208
.LBB0_3:
	s_or_b64 exec, exec, s[0:1]
	v_mul_lo_u16_e32 v26, 24, v99
	v_lshrrev_b16_e32 v26, 8, v26
	v_mul_lo_u16_e32 v27, 11, v26
	v_sub_u16_e32 v27, v99, v27
	v_mov_b32_e32 v28, 3
	v_lshlrev_b32_sdwa v29, v28, v27 dst_sel:DWORD dst_unused:UNUSED_PAD src0_sel:DWORD src1_sel:BYTE_0
	global_load_dwordx2 v[79:80], v29, s[10:11]
	v_mov_b32_e32 v21, s9
	s_waitcnt vmcnt(0) lgkmcnt(5)
	v_mul_f32_e32 v29, v17, v80
	v_fma_f32 v29, v16, v79, -v29
	v_mul_f32_e32 v16, v16, v80
	v_fmac_f32_e32 v16, v17, v79
	v_or_b32_e32 v17, 32, v99
	v_mul_lo_u16_e32 v30, 47, v17
	v_lshrrev_b16_e32 v50, 9, v30
	v_mul_lo_u16_e32 v30, 11, v50
	v_sub_u16_e32 v17, v17, v30
	v_lshlrev_b32_sdwa v30, v28, v17 dst_sel:DWORD dst_unused:UNUSED_PAD src0_sel:DWORD src1_sel:BYTE_0
	global_load_dwordx2 v[81:82], v30, s[10:11]
	s_waitcnt vmcnt(0)
	v_mul_f32_e32 v30, v19, v82
	v_fma_f32 v30, v18, v81, -v30
	v_mul_f32_e32 v18, v18, v82
	v_fmac_f32_e32 v18, v19, v81
	v_or_b32_e32 v19, 64, v99
	v_mul_lo_u16_e32 v31, 0xbb, v19
	v_lshrrev_b16_e32 v51, 11, v31
	v_mul_lo_u16_e32 v31, 11, v51
	v_sub_u16_e32 v19, v19, v31
	v_lshlrev_b32_sdwa v31, v28, v19 dst_sel:DWORD dst_unused:UNUSED_PAD src0_sel:DWORD src1_sel:BYTE_0
	global_load_dwordx2 v[83:84], v31, s[10:11]
	s_waitcnt lgkmcnt(4)
	v_sub_f32_e32 v33, v9, v18
	s_waitcnt vmcnt(0) lgkmcnt(3)
	v_mul_f32_e32 v31, v13, v84
	v_fma_f32 v34, v12, v83, -v31
	v_mul_f32_e32 v12, v12, v84
	v_fmac_f32_e32 v12, v13, v83
	v_or_b32_e32 v13, 0x60, v99
	v_mul_lo_u16_e32 v31, 0xbb, v13
	v_lshrrev_b16_e32 v52, 11, v31
	v_mul_lo_u16_e32 v31, 11, v52
	v_sub_u16_e32 v13, v13, v31
	v_lshlrev_b32_sdwa v31, v28, v13 dst_sel:DWORD dst_unused:UNUSED_PAD src0_sel:DWORD src1_sel:BYTE_0
	global_load_dwordx2 v[85:86], v31, s[10:11]
	v_sub_f32_e32 v36, v10, v34
	v_sub_f32_e32 v37, v11, v12
	v_fma_f32 v34, v10, 2.0, -v36
	v_fma_f32 v35, v11, 2.0, -v37
	s_waitcnt vmcnt(0)
	v_mul_f32_e32 v31, v15, v86
	v_fma_f32 v38, v14, v85, -v31
	v_mul_f32_e32 v14, v14, v86
	v_fmac_f32_e32 v14, v15, v85
	v_or_b32_e32 v15, 0x80, v99
	v_mul_lo_u16_e32 v31, 0x75, v15
	v_sub_u16_sdwa v32, v15, v31 dst_sel:DWORD dst_unused:UNUSED_PAD src0_sel:DWORD src1_sel:BYTE_1
	v_lshrrev_b16_e32 v32, 1, v32
	v_and_b32_e32 v32, 0x7f, v32
	v_add_u16_sdwa v31, v32, v31 dst_sel:DWORD dst_unused:UNUSED_PAD src0_sel:DWORD src1_sel:BYTE_1
	v_lshrrev_b16_e32 v31, 3, v31
	v_and_b32_e32 v53, 31, v31
	v_mul_lo_u16_e32 v31, 11, v53
	v_sub_u16_e32 v15, v15, v31
	v_lshlrev_b32_sdwa v31, v28, v15 dst_sel:DWORD dst_unused:UNUSED_PAD src0_sel:DWORD src1_sel:BYTE_0
	global_load_dwordx2 v[87:88], v31, s[10:11]
	v_sub_f32_e32 v32, v8, v30
	s_waitcnt lgkmcnt(2)
	v_sub_f32_e32 v40, v4, v38
	v_sub_f32_e32 v41, v5, v14
	v_fma_f32 v30, v8, 2.0, -v32
	v_fma_f32 v38, v4, 2.0, -v40
	;; [unrolled: 1-line block ×3, first 2 shown]
	s_waitcnt vmcnt(0) lgkmcnt(0)
	v_mul_f32_e32 v31, v25, v88
	v_fma_f32 v42, v24, v87, -v31
	v_mul_f32_e32 v24, v24, v88
	v_fmac_f32_e32 v24, v25, v87
	v_mul_lo_u16_e32 v25, 0x75, v20
	v_sub_u16_sdwa v31, v20, v25 dst_sel:DWORD dst_unused:UNUSED_PAD src0_sel:DWORD src1_sel:BYTE_1
	v_lshrrev_b16_e32 v31, 1, v31
	v_and_b32_e32 v31, 0x7f, v31
	v_add_u16_sdwa v25, v31, v25 dst_sel:DWORD dst_unused:UNUSED_PAD src0_sel:DWORD src1_sel:BYTE_1
	v_lshrrev_b16_e32 v25, 3, v25
	v_mul_lo_u16_e32 v31, 11, v25
	v_sub_u16_e32 v104, v20, v31
	v_lshlrev_b32_sdwa v20, v28, v104 dst_sel:DWORD dst_unused:UNUSED_PAD src0_sel:DWORD src1_sel:BYTE_0
	global_load_dwordx2 v[89:90], v20, s[10:11]
	v_sub_f32_e32 v28, v22, v29
	v_sub_f32_e32 v29, v23, v16
	;; [unrolled: 1-line block ×4, first 2 shown]
	v_fma_f32 v93, v22, 2.0, -v28
	v_fma_f32 v94, v23, 2.0, -v29
	;; [unrolled: 1-line block ×5, first 2 shown]
	v_mul_u32_u24_e32 v110, 22, v25
	s_waitcnt lgkmcnt(0)
	; wave barrier
	s_waitcnt vmcnt(0)
	v_mul_f32_e32 v20, v3, v90
	v_fma_f32 v20, v2, v89, -v20
	v_sub_f32_e32 v48, v0, v20
	v_fma_f32 v46, v0, 2.0, -v48
	v_mad_legacy_u16 v0, v26, 22, v27
	v_and_b32_e32 v0, 0xff, v0
	v_add_lshl_u32 v106, v105, v0, 3
	v_mad_legacy_u16 v0, v50, 22, v17
	v_and_b32_e32 v0, 0xff, v0
	v_add_lshl_u32 v107, v105, v0, 3
	v_mul_u32_u24_e32 v0, 22, v51
	v_add_u32_sdwa v0, v0, v19 dst_sel:DWORD dst_unused:UNUSED_PAD src0_sel:DWORD src1_sel:BYTE_0
	v_add_lshl_u32 v108, v105, v0, 3
	v_mul_u32_u24_e32 v0, 22, v52
	v_add_u32_sdwa v0, v0, v13 dst_sel:DWORD dst_unused:UNUSED_PAD src0_sel:DWORD src1_sel:BYTE_0
	v_mul_f32_e32 v2, v2, v90
	v_add_lshl_u32 v109, v105, v0, 3
	v_mov_b32_e32 v0, 22
	v_fmac_f32_e32 v2, v3, v89
	v_mul_u32_u24_sdwa v0, v53, v0 dst_sel:DWORD dst_unused:UNUSED_PAD src0_sel:WORD_0 src1_sel:DWORD
	v_sub_f32_e32 v49, v1, v2
	v_add_u32_sdwa v0, v0, v15 dst_sel:DWORD dst_unused:UNUSED_PAD src0_sel:DWORD src1_sel:BYTE_0
	v_fma_f32 v47, v1, 2.0, -v49
	v_add_lshl_u32 v111, v105, v0, 3
	ds_write2_b64 v106, v[93:94], v[28:29] offset1:11
	ds_write2_b64 v107, v[30:31], v[32:33] offset1:11
	;; [unrolled: 1-line block ×5, first 2 shown]
	s_and_saveexec_b64 s[0:1], vcc
	s_cbranch_execz .LBB0_5
; %bb.4:
	v_add_u32_sdwa v0, v110, v104 dst_sel:DWORD dst_unused:UNUSED_PAD src0_sel:DWORD src1_sel:BYTE_0
	v_add_lshl_u32 v0, v105, v0, 3
	ds_write2_b64 v0, v[46:47], v[48:49] offset1:11
.LBB0_5:
	s_or_b64 exec, exec, s[0:1]
	v_add_co_u32_e64 v95, s[0:1], s8, v102
	v_addc_co_u32_e64 v96, s[0:1], 0, v21, s[0:1]
	v_cmp_gt_u32_e64 s[0:1], 22, v99
	s_waitcnt lgkmcnt(0)
	; wave barrier
	s_waitcnt lgkmcnt(0)
                                        ; implicit-def: $vgpr97
                                        ; implicit-def: $vgpr54
	s_and_saveexec_b64 s[2:3], s[0:1]
	s_cbranch_execz .LBB0_7
; %bb.6:
	ds_read2_b64 v[28:31], v100 offset0:22 offset1:44
	ds_read2_b64 v[32:35], v100 offset0:66 offset1:88
	;; [unrolled: 1-line block ×5, first 2 shown]
	v_add_u32_e32 v0, 0x400, v100
	ds_read2_b64 v[48:51], v0 offset0:114 offset1:136
	v_add_u32_e32 v0, 0x800, v100
	ds_read2_b64 v[52:55], v0 offset0:30 offset1:52
	ds_read_b64 v[93:94], v101
	ds_read_b64 v[97:98], v100 offset:2640
.LBB0_7:
	s_or_b64 exec, exec, s[2:3]
	v_subrev_u32_e32 v0, 22, v99
	v_cndmask_b32_e64 v0, v0, v99, s[0:1]
	v_mul_hi_i32_i24_e32 v1, 0x78, v0
	v_mul_i32_i24_e32 v0, 0x78, v0
	v_mov_b32_e32 v2, s11
	v_add_co_u32_e64 v112, s[2:3], s10, v0
	v_addc_co_u32_e64 v113, s[2:3], v2, v1, s[2:3]
	global_load_dwordx4 v[8:11], v[112:113], off offset:88
	global_load_dwordx4 v[4:7], v[112:113], off offset:104
	;; [unrolled: 1-line block ×7, first 2 shown]
	global_load_dwordx2 v[91:92], v[112:113], off offset:200
	s_waitcnt vmcnt(7) lgkmcnt(8)
	v_mul_f32_e32 v115, v30, v11
	s_waitcnt vmcnt(6) lgkmcnt(7)
	v_mul_f32_e32 v118, v35, v7
	v_mul_f32_e32 v119, v34, v7
	s_waitcnt vmcnt(5) lgkmcnt(6)
	v_mul_f32_e32 v123, v38, v15
	s_waitcnt vmcnt(4) lgkmcnt(5)
	v_mul_f32_e32 v126, v43, v3
	s_waitcnt vmcnt(2) lgkmcnt(3)
	v_mul_f32_e32 v134, v51, v19
	v_mul_f32_e32 v113, v28, v9
	;; [unrolled: 1-line block ×9, first 2 shown]
	s_waitcnt vmcnt(1) lgkmcnt(2)
	v_mul_f32_e32 v139, v54, v27
	v_fmac_f32_e32 v115, v31, v10
	v_fma_f32 v31, v34, v6, -v118
	v_fmac_f32_e32 v119, v35, v6
	v_fmac_f32_e32 v123, v39, v14
	v_fma_f32 v35, v42, v2, -v126
	v_fma_f32 v39, v50, v18, -v134
	v_mul_f32_e32 v112, v29, v9
	v_mul_f32_e32 v116, v33, v5
	;; [unrolled: 1-line block ×10, first 2 shown]
	v_fmac_f32_e32 v113, v29, v8
	v_fma_f32 v29, v30, v10, -v114
	v_fmac_f32_e32 v121, v37, v12
	v_fmac_f32_e32 v127, v43, v2
	v_fma_f32 v37, v46, v22, -v130
	v_fmac_f32_e32 v131, v47, v22
	v_fmac_f32_e32 v135, v51, v18
	;; [unrolled: 1-line block ×3, first 2 shown]
	s_waitcnt lgkmcnt(1)
	v_sub_f32_e32 v35, v93, v35
	v_sub_f32_e32 v39, v31, v39
	v_mul_f32_e32 v132, v49, v17
	v_mul_f32_e32 v133, v48, v17
	;; [unrolled: 1-line block ×3, first 2 shown]
	s_waitcnt vmcnt(0) lgkmcnt(0)
	v_mul_f32_e32 v141, v97, v92
	v_fma_f32 v28, v28, v8, -v112
	v_fma_f32 v30, v32, v4, -v116
	v_fmac_f32_e32 v117, v33, v4
	v_fma_f32 v32, v36, v12, -v120
	v_fma_f32 v33, v38, v14, -v122
	;; [unrolled: 1-line block ×3, first 2 shown]
	v_fmac_f32_e32 v125, v41, v0
	v_fma_f32 v36, v44, v20, -v128
	v_fmac_f32_e32 v129, v45, v20
	v_fma_f32 v40, v52, v24, -v136
	v_fma_f32 v41, v54, v26, -v138
	v_sub_f32_e32 v43, v94, v127
	v_sub_f32_e32 v45, v119, v135
	;; [unrolled: 1-line block ×4, first 2 shown]
	v_fma_f32 v37, v93, 2.0, -v35
	v_fma_f32 v31, v31, 2.0, -v39
	v_sub_f32_e32 v51, v123, v139
	v_mul_f32_e32 v140, v98, v92
	v_fma_f32 v38, v48, v16, -v132
	v_fmac_f32_e32 v133, v49, v16
	v_fmac_f32_e32 v137, v53, v24
	;; [unrolled: 1-line block ×3, first 2 shown]
	v_fma_f32 v48, v94, 2.0, -v43
	v_fma_f32 v44, v119, 2.0, -v45
	;; [unrolled: 1-line block ×3, first 2 shown]
	v_sub_f32_e32 v50, v33, v41
	v_fma_f32 v52, v123, 2.0, -v51
	v_sub_f32_e32 v53, v28, v36
	v_sub_f32_e32 v93, v32, v40
	;; [unrolled: 1-line block ×4, first 2 shown]
	v_fma_f32 v42, v97, v91, -v140
	v_sub_f32_e32 v54, v113, v129
	v_fma_f32 v28, v28, 2.0, -v53
	v_fma_f32 v32, v32, 2.0, -v93
	v_sub_f32_e32 v97, v30, v38
	v_sub_f32_e32 v98, v117, v133
	;; [unrolled: 1-line block ×4, first 2 shown]
	v_add_f32_e32 v116, v43, v39
	v_fma_f32 v38, v35, 2.0, -v31
	v_sub_f32_e32 v35, v49, v52
	v_fma_f32 v55, v113, 2.0, -v54
	v_sub_f32_e32 v94, v121, v137
	;; [unrolled: 2-line block ×3, first 2 shown]
	v_fma_f32 v115, v125, 2.0, -v114
	v_fma_f32 v36, v37, 2.0, -v41
	;; [unrolled: 1-line block ×5, first 2 shown]
	v_sub_f32_e32 v51, v46, v51
	v_add_f32_e32 v117, v47, v50
	v_sub_f32_e32 v48, v28, v32
	v_fma_f32 v29, v29, 2.0, -v46
	v_fma_f32 v118, v46, 2.0, -v51
	;; [unrolled: 1-line block ×4, first 2 shown]
	v_sub_f32_e32 v28, v53, v94
	v_add_f32_e32 v32, v54, v93
	v_sub_f32_e32 v93, v112, v115
	v_sub_f32_e32 v46, v37, v49
	v_mov_b32_e32 v49, v38
	v_mov_b32_e32 v52, v42
	v_fma_f32 v40, v121, 2.0, -v94
	v_fma_f32 v45, v53, 2.0, -v28
	v_fma_f32 v53, v112, 2.0, -v93
	v_fmac_f32_e32 v49, 0xbf3504f3, v118
	v_fmac_f32_e32 v52, 0xbf3504f3, v119
	v_mov_b32_e32 v112, v31
	v_mov_b32_e32 v115, v116
	v_fma_f32 v33, v33, 2.0, -v50
	v_fma_f32 v30, v30, 2.0, -v97
	;; [unrolled: 1-line block ×3, first 2 shown]
	v_sub_f32_e32 v50, v55, v40
	v_fma_f32 v47, v54, 2.0, -v32
	v_sub_f32_e32 v94, v97, v114
	v_add_f32_e32 v120, v98, v113
	v_fmac_f32_e32 v49, 0xbf3504f3, v119
	v_fmac_f32_e32 v52, 0x3f3504f3, v118
	;; [unrolled: 1-line block ×4, first 2 shown]
	v_mov_b32_e32 v118, v28
	v_mov_b32_e32 v119, v32
	v_sub_f32_e32 v33, v29, v33
	v_fma_f32 v40, v55, 2.0, -v50
	v_sub_f32_e32 v34, v30, v34
	v_fma_f32 v121, v97, 2.0, -v94
	v_fma_f32 v122, v98, 2.0, -v120
	v_fmac_f32_e32 v112, 0xbf3504f3, v117
	v_fmac_f32_e32 v115, 0x3f3504f3, v51
	v_mov_b32_e32 v55, v45
	v_mov_b32_e32 v98, v47
	v_fmac_f32_e32 v118, 0x3f3504f3, v94
	v_fmac_f32_e32 v119, 0x3f3504f3, v120
	v_fma_f32 v29, v29, 2.0, -v33
	v_fma_f32 v30, v30, 2.0, -v34
	v_sub_f32_e32 v54, v41, v35
	v_add_f32_e32 v97, v44, v33
	v_fma_f32 v113, v31, 2.0, -v112
	v_fma_f32 v114, v116, 2.0, -v115
	v_fmac_f32_e32 v55, 0xbf3504f3, v121
	v_fmac_f32_e32 v98, 0xbf3504f3, v122
	;; [unrolled: 1-line block ×4, first 2 shown]
	v_sub_f32_e32 v43, v36, v29
	v_sub_f32_e32 v51, v39, v30
	v_fmac_f32_e32 v55, 0xbf3504f3, v122
	v_fmac_f32_e32 v98, 0x3f3504f3, v121
	v_sub_f32_e32 v116, v48, v93
	v_add_f32_e32 v117, v50, v34
	v_fma_f32 v30, v28, 2.0, -v118
	v_fma_f32 v31, v32, 2.0, -v119
	v_mov_b32_e32 v28, v113
	v_mov_b32_e32 v29, v114
	v_mov_b32_e32 v32, v49
	v_mov_b32_e32 v33, v52
	v_mov_b32_e32 v34, v54
	v_mov_b32_e32 v35, v97
	v_mov_b32_e32 v93, v112
	v_mov_b32_e32 v94, v115
	v_sub_f32_e32 v53, v40, v53
	v_fmac_f32_e32 v28, 0xbec3ef15, v30
	v_fmac_f32_e32 v29, 0xbec3ef15, v31
	v_fmac_f32_e32 v32, 0x3ec3ef15, v55
	v_fmac_f32_e32 v33, 0x3ec3ef15, v98
	v_fmac_f32_e32 v34, 0x3f3504f3, v116
	v_fmac_f32_e32 v35, 0x3f3504f3, v117
	v_fmac_f32_e32 v93, 0x3f6c835e, v118
	v_fmac_f32_e32 v94, 0x3f6c835e, v119
	v_fmac_f32_e32 v28, 0xbf6c835e, v31
	v_fmac_f32_e32 v29, 0x3f6c835e, v30
	v_sub_f32_e32 v30, v43, v53
	v_add_f32_e32 v31, v46, v51
	v_fmac_f32_e32 v32, 0xbf6c835e, v98
	v_fmac_f32_e32 v33, 0x3f6c835e, v55
	;; [unrolled: 1-line block ×6, first 2 shown]
	s_and_saveexec_b64 s[2:3], s[0:1]
	s_cbranch_execz .LBB0_9
; %bb.8:
	v_fma_f32 v41, v41, 2.0, -v54
	v_fma_f32 v44, v44, 2.0, -v97
	;; [unrolled: 1-line block ×3, first 2 shown]
	v_mov_b32_e32 v116, v41
	v_fma_f32 v50, v50, 2.0, -v117
	v_mov_b32_e32 v117, v44
	v_fmac_f32_e32 v116, 0xbf3504f3, v48
	v_fmac_f32_e32 v117, 0xbf3504f3, v50
	;; [unrolled: 1-line block ×4, first 2 shown]
	v_fma_f32 v126, v41, 2.0, -v116
	v_fma_f32 v41, v42, 2.0, -v52
	;; [unrolled: 1-line block ×4, first 2 shown]
	v_mov_b32_e32 v42, v41
	v_fmac_f32_e32 v42, 0xbf6c835e, v44
	v_fma_f32 v47, v45, 2.0, -v55
	v_fmac_f32_e32 v42, 0x3ec3ef15, v47
	v_fma_f32 v38, v38, 2.0, -v49
	v_fma_f32 v45, v41, 2.0, -v42
	v_mov_b32_e32 v41, v38
	v_fmac_f32_e32 v41, 0xbf6c835e, v47
	v_fmac_f32_e32 v41, 0xbec3ef15, v44
	v_fma_f32 v44, v38, 2.0, -v41
	v_fma_f32 v38, v37, 2.0, -v46
	;; [unrolled: 1-line block ×3, first 2 shown]
	v_sub_f32_e32 v37, v38, v37
	v_fma_f32 v40, v38, 2.0, -v37
	v_fma_f32 v38, v36, 2.0, -v43
	;; [unrolled: 1-line block ×3, first 2 shown]
	v_sub_f32_e32 v36, v38, v36
	v_fma_f32 v39, v38, 2.0, -v36
	v_fma_f32 v119, v115, 2.0, -v94
	;; [unrolled: 1-line block ×11, first 2 shown]
	ds_write_b64 v101, v[39:40]
	ds_write2_b64 v100, v[44:45], v[126:127] offset0:22 offset1:44
	ds_write2_b64 v100, v[113:114], v[124:125] offset0:66 offset1:88
	;; [unrolled: 1-line block ×5, first 2 shown]
	v_add_u32_e32 v36, 0x400, v100
	ds_write2_b64 v36, v[28:29], v[30:31] offset0:114 offset1:136
	v_add_u32_e32 v36, 0x800, v100
	ds_write2_b64 v36, v[32:33], v[34:35] offset0:30 offset1:52
	ds_write_b64 v100, v[93:94] offset:2640
.LBB0_9:
	s_or_b64 exec, exec, s[2:3]
	s_waitcnt lgkmcnt(0)
	; wave barrier
	s_waitcnt lgkmcnt(0)
	global_load_dwordx2 v[36:37], v[95:96], off offset:2816
	s_add_u32 s2, s8, 0xb00
	s_addc_u32 s3, s9, 0
	global_load_dwordx2 v[52:53], v102, s[2:3] offset:256
	global_load_dwordx2 v[54:55], v102, s[2:3] offset:512
	;; [unrolled: 1-line block ×10, first 2 shown]
	ds_read_b64 v[38:39], v101
	v_lshlrev_b32_e32 v98, 3, v105
	v_add_u32_e32 v105, 0x800, v100
	v_add_u32_e32 v97, v98, v102
	s_mov_b32 s8, 0x3f575c64
	s_mov_b32 s2, 0x3ed4b147
	;; [unrolled: 1-line block ×5, first 2 shown]
	s_waitcnt vmcnt(10) lgkmcnt(0)
	v_mul_f32_e32 v40, v39, v37
	v_mul_f32_e32 v41, v38, v37
	v_fma_f32 v40, v38, v36, -v40
	v_fmac_f32_e32 v41, v39, v36
	ds_write_b64 v101, v[40:41]
	ds_read2_b64 v[36:39], v100 offset0:32 offset1:64
	ds_read2_b64 v[40:43], v100 offset0:96 offset1:128
	;; [unrolled: 1-line block ×3, first 2 shown]
	ds_read2_b64 v[48:51], v105 offset1:32
	ds_read_b64 v[126:127], v97 offset:1280
	ds_read_b64 v[128:129], v100 offset:2560
	s_waitcnt vmcnt(9) lgkmcnt(5)
	v_mul_f32_e32 v102, v37, v53
	v_mul_f32_e32 v131, v36, v53
	s_waitcnt vmcnt(8)
	v_mul_f32_e32 v132, v39, v55
	v_mul_f32_e32 v53, v38, v55
	s_waitcnt vmcnt(7) lgkmcnt(4)
	v_mul_f32_e32 v133, v41, v96
	v_mul_f32_e32 v55, v40, v96
	s_waitcnt vmcnt(6)
	v_mul_f32_e32 v134, v43, v113
	v_mul_f32_e32 v96, v42, v113
	;; [unrolled: 6-line block ×3, first 2 shown]
	s_waitcnt vmcnt(3)
	v_mul_f32_e32 v137, v47, v119
	v_mul_f32_e32 v117, v46, v119
	s_waitcnt vmcnt(2)
	v_mul_f32_e32 v138, v49, v121
	v_mul_f32_e32 v119, v48, v121
	;; [unrolled: 3-line block ×3, first 2 shown]
	s_waitcnt vmcnt(0) lgkmcnt(0)
	v_mul_f32_e32 v140, v129, v125
	v_mul_f32_e32 v123, v128, v125
	v_fma_f32 v130, v36, v52, -v102
	v_fmac_f32_e32 v131, v37, v52
	v_fma_f32 v52, v38, v54, -v132
	v_fmac_f32_e32 v53, v39, v54
	;; [unrolled: 2-line block ×10, first 2 shown]
	ds_write2_b64 v100, v[130:131], v[52:53] offset0:32 offset1:64
	ds_write2_b64 v100, v[54:55], v[95:96] offset0:96 offset1:128
	ds_write_b64 v97, v[112:113] offset:1280
	ds_write2_b64 v100, v[114:115], v[116:117] offset0:192 offset1:224
	ds_write2_b64 v105, v[118:119], v[120:121] offset1:32
	ds_write_b64 v100, v[122:123] offset:2560
	s_waitcnt lgkmcnt(0)
	; wave barrier
	s_waitcnt lgkmcnt(0)
	ds_read_b64 v[52:53], v101
	ds_read2_b64 v[36:39], v100 offset0:32 offset1:64
	ds_read2_b64 v[40:43], v100 offset0:96 offset1:128
	;; [unrolled: 1-line block ×3, first 2 shown]
	ds_read2_b64 v[48:51], v105 offset1:32
	ds_read_b64 v[54:55], v97 offset:1280
	ds_read_b64 v[95:96], v100 offset:2560
	s_waitcnt lgkmcnt(5)
	v_add_f32_e32 v105, v53, v37
	v_add_f32_e32 v105, v105, v39
	;; [unrolled: 1-line block ×3, first 2 shown]
	s_waitcnt lgkmcnt(4)
	v_add_f32_e32 v105, v105, v41
	v_add_f32_e32 v102, v102, v38
	;; [unrolled: 1-line block ×4, first 2 shown]
	s_waitcnt lgkmcnt(1)
	v_add_f32_e32 v105, v105, v55
	v_add_f32_e32 v102, v102, v42
	;; [unrolled: 1-line block ×10, first 2 shown]
	s_waitcnt lgkmcnt(0)
	v_add_f32_e32 v113, v105, v96
	v_add_f32_e32 v105, v96, v37
	;; [unrolled: 1-line block ×3, first 2 shown]
	v_sub_f32_e32 v37, v37, v96
	v_mul_f32_e32 v114, 0x3f575c64, v105
	v_mul_f32_e32 v118, 0x3ed4b147, v105
	;; [unrolled: 1-line block ×5, first 2 shown]
	v_add_f32_e32 v112, v102, v95
	v_add_f32_e32 v102, v95, v36
	v_sub_f32_e32 v36, v36, v95
	v_mul_f32_e32 v95, 0xbf0a6770, v37
	v_mov_b32_e32 v115, v114
	v_mul_f32_e32 v116, 0xbf68dda4, v37
	v_mov_b32_e32 v119, v118
	;; [unrolled: 2-line block ×5, first 2 shown]
	v_mov_b32_e32 v96, v95
	v_fmac_f32_e32 v115, 0x3f0a6770, v36
	v_fmac_f32_e32 v114, 0xbf0a6770, v36
	v_mov_b32_e32 v117, v116
	v_fmac_f32_e32 v119, 0x3f68dda4, v36
	v_fmac_f32_e32 v118, 0xbf68dda4, v36
	v_mov_b32_e32 v121, v120
	v_fmac_f32_e32 v123, 0x3f7d64f0, v36
	v_fmac_f32_e32 v122, 0xbf7d64f0, v36
	v_mov_b32_e32 v125, v124
	v_fmac_f32_e32 v127, 0x3f4178ce, v36
	v_fmac_f32_e32 v126, 0xbf4178ce, v36
	v_mov_b32_e32 v128, v37
	v_fmac_f32_e32 v129, 0x3e903f40, v36
	v_fmac_f32_e32 v105, 0xbe903f40, v36
	v_fmac_f32_e32 v96, 0x3f575c64, v102
	v_add_f32_e32 v115, v53, v115
	v_fma_f32 v95, v102, s8, -v95
	v_add_f32_e32 v114, v53, v114
	v_fmac_f32_e32 v117, 0x3ed4b147, v102
	v_add_f32_e32 v119, v53, v119
	v_fma_f32 v116, v102, s2, -v116
	v_add_f32_e32 v118, v53, v118
	;; [unrolled: 4-line block ×5, first 2 shown]
	v_add_f32_e32 v53, v51, v39
	v_sub_f32_e32 v39, v39, v51
	v_add_f32_e32 v96, v52, v96
	v_add_f32_e32 v95, v52, v95
	;; [unrolled: 1-line block ×11, first 2 shown]
	v_sub_f32_e32 v38, v38, v50
	v_mul_f32_e32 v50, 0xbf68dda4, v39
	v_mov_b32_e32 v51, v50
	v_fmac_f32_e32 v51, 0x3ed4b147, v52
	v_add_f32_e32 v51, v51, v96
	v_mul_f32_e32 v96, 0x3ed4b147, v53
	v_mov_b32_e32 v102, v96
	v_fma_f32 v50, v52, s2, -v50
	v_fmac_f32_e32 v96, 0xbf68dda4, v38
	v_add_f32_e32 v50, v50, v95
	v_add_f32_e32 v95, v96, v114
	v_mul_f32_e32 v96, 0xbf4178ce, v39
	v_mov_b32_e32 v105, v96
	v_fma_f32 v96, v52, s9, -v96
	v_fmac_f32_e32 v102, 0x3f68dda4, v38
	v_fmac_f32_e32 v105, 0xbf27a4f4, v52
	v_mul_f32_e32 v114, 0xbf27a4f4, v53
	v_add_f32_e32 v96, v96, v116
	v_mul_f32_e32 v116, 0x3e903f40, v39
	v_add_f32_e32 v102, v102, v115
	v_add_f32_e32 v105, v105, v117
	v_mov_b32_e32 v115, v114
	v_fmac_f32_e32 v114, 0xbf4178ce, v38
	v_mov_b32_e32 v117, v116
	v_fma_f32 v116, v52, s10, -v116
	v_fmac_f32_e32 v115, 0x3f4178ce, v38
	v_add_f32_e32 v114, v114, v118
	v_fmac_f32_e32 v117, 0xbf75a155, v52
	v_mul_f32_e32 v118, 0xbf75a155, v53
	v_add_f32_e32 v116, v116, v120
	v_mul_f32_e32 v120, 0x3f7d64f0, v39
	v_add_f32_e32 v115, v115, v119
	v_add_f32_e32 v117, v117, v121
	v_mov_b32_e32 v119, v118
	v_fmac_f32_e32 v118, 0x3e903f40, v38
	v_mov_b32_e32 v121, v120
	v_fma_f32 v120, v52, s3, -v120
	v_mul_f32_e32 v39, 0x3f0a6770, v39
	v_fmac_f32_e32 v119, 0xbe903f40, v38
	v_add_f32_e32 v118, v118, v122
	v_fmac_f32_e32 v121, 0xbe11bafb, v52
	v_mul_f32_e32 v122, 0xbe11bafb, v53
	v_add_f32_e32 v120, v120, v124
	v_mov_b32_e32 v124, v39
	v_mul_f32_e32 v53, 0x3f575c64, v53
	v_fma_f32 v39, v52, s8, -v39
	v_add_f32_e32 v119, v119, v123
	v_add_f32_e32 v121, v121, v125
	v_mov_b32_e32 v123, v122
	v_mov_b32_e32 v125, v53
	v_add_f32_e32 v37, v39, v37
	v_add_f32_e32 v39, v49, v41
	v_sub_f32_e32 v41, v41, v49
	v_fmac_f32_e32 v123, 0xbf7d64f0, v38
	v_fmac_f32_e32 v122, 0x3f7d64f0, v38
	;; [unrolled: 1-line block ×4, first 2 shown]
	v_add_f32_e32 v38, v48, v40
	v_sub_f32_e32 v40, v40, v48
	v_mul_f32_e32 v48, 0xbf7d64f0, v41
	v_mov_b32_e32 v49, v48
	v_fmac_f32_e32 v49, 0xbe11bafb, v38
	v_add_f32_e32 v49, v49, v51
	v_mul_f32_e32 v51, 0xbe11bafb, v39
	v_fmac_f32_e32 v124, 0x3f575c64, v52
	v_mov_b32_e32 v52, v51
	v_fma_f32 v48, v38, s3, -v48
	v_fmac_f32_e32 v51, 0xbf7d64f0, v40
	v_add_f32_e32 v48, v48, v50
	v_add_f32_e32 v50, v51, v95
	v_mul_f32_e32 v51, 0x3e903f40, v41
	v_add_f32_e32 v36, v53, v36
	v_mov_b32_e32 v53, v51
	v_fma_f32 v51, v38, s10, -v51
	v_fmac_f32_e32 v52, 0x3f7d64f0, v40
	v_fmac_f32_e32 v53, 0xbf75a155, v38
	v_mul_f32_e32 v95, 0xbf75a155, v39
	v_add_f32_e32 v51, v51, v96
	v_mul_f32_e32 v96, 0x3f68dda4, v41
	v_add_f32_e32 v52, v52, v102
	v_add_f32_e32 v53, v53, v105
	v_mov_b32_e32 v102, v95
	v_fmac_f32_e32 v95, 0x3e903f40, v40
	v_mov_b32_e32 v105, v96
	v_fma_f32 v96, v38, s2, -v96
	v_fmac_f32_e32 v102, 0xbe903f40, v40
	v_add_f32_e32 v95, v95, v114
	v_fmac_f32_e32 v105, 0x3ed4b147, v38
	v_mul_f32_e32 v114, 0x3ed4b147, v39
	v_add_f32_e32 v96, v96, v116
	v_mul_f32_e32 v116, 0xbf0a6770, v41
	v_add_f32_e32 v102, v102, v115
	v_add_f32_e32 v105, v105, v117
	v_mov_b32_e32 v115, v114
	v_fmac_f32_e32 v114, 0x3f68dda4, v40
	v_mov_b32_e32 v117, v116
	v_fma_f32 v116, v38, s8, -v116
	v_mul_f32_e32 v41, 0xbf4178ce, v41
	v_fmac_f32_e32 v115, 0xbf68dda4, v40
	v_add_f32_e32 v114, v114, v118
	v_fmac_f32_e32 v117, 0x3f575c64, v38
	v_mul_f32_e32 v118, 0x3f575c64, v39
	v_add_f32_e32 v116, v116, v120
	v_mov_b32_e32 v120, v41
	v_mul_f32_e32 v39, 0xbf27a4f4, v39
	v_add_f32_e32 v115, v115, v119
	v_add_f32_e32 v117, v117, v121
	v_mov_b32_e32 v119, v118
	v_fmac_f32_e32 v120, 0xbf27a4f4, v38
	v_mov_b32_e32 v121, v39
	v_fma_f32 v38, v38, s9, -v41
	v_fmac_f32_e32 v39, 0xbf4178ce, v40
	v_sub_f32_e32 v41, v43, v47
	v_fmac_f32_e32 v119, 0x3f0a6770, v40
	v_fmac_f32_e32 v118, 0xbf0a6770, v40
	;; [unrolled: 1-line block ×3, first 2 shown]
	v_add_f32_e32 v37, v38, v37
	v_add_f32_e32 v36, v39, v36
	;; [unrolled: 1-line block ×4, first 2 shown]
	v_sub_f32_e32 v40, v42, v46
	v_mul_f32_e32 v42, 0xbf4178ce, v41
	v_mov_b32_e32 v43, v42
	v_mul_f32_e32 v46, 0xbf27a4f4, v39
	v_fma_f32 v42, v38, s9, -v42
	v_fmac_f32_e32 v43, 0xbf27a4f4, v38
	v_mov_b32_e32 v47, v46
	v_add_f32_e32 v42, v42, v48
	v_fmac_f32_e32 v46, 0xbf4178ce, v40
	v_mul_f32_e32 v48, 0x3f7d64f0, v41
	v_add_f32_e32 v43, v43, v49
	v_fmac_f32_e32 v47, 0x3f4178ce, v40
	v_add_f32_e32 v46, v46, v50
	v_mov_b32_e32 v49, v48
	v_mul_f32_e32 v50, 0xbe11bafb, v39
	v_fma_f32 v48, v38, s3, -v48
	v_add_f32_e32 v47, v47, v52
	v_fmac_f32_e32 v49, 0xbe11bafb, v38
	v_mov_b32_e32 v52, v50
	v_add_f32_e32 v48, v48, v51
	v_fmac_f32_e32 v50, 0x3f7d64f0, v40
	v_mul_f32_e32 v51, 0xbf0a6770, v41
	v_add_f32_e32 v49, v49, v53
	v_fmac_f32_e32 v52, 0xbf7d64f0, v40
	v_add_f32_e32 v50, v50, v95
	v_mov_b32_e32 v53, v51
	v_mul_f32_e32 v95, 0x3f575c64, v39
	v_add_f32_e32 v52, v52, v102
	v_fmac_f32_e32 v53, 0x3f575c64, v38
	v_mov_b32_e32 v102, v95
	v_fmac_f32_e32 v95, 0xbf0a6770, v40
	v_add_f32_e32 v53, v53, v105
	v_fma_f32 v51, v38, s8, -v51
	v_add_f32_e32 v105, v95, v114
	v_mul_f32_e32 v95, 0xbe903f40, v41
	v_add_f32_e32 v51, v51, v96
	v_mov_b32_e32 v96, v95
	v_fmac_f32_e32 v96, 0xbf75a155, v38
	v_fma_f32 v95, v38, s10, -v95
	v_mul_f32_e32 v41, 0x3f68dda4, v41
	v_add_f32_e32 v122, v122, v126
	v_add_f32_e32 v124, v124, v128
	v_fmac_f32_e32 v102, 0x3f0a6770, v40
	v_add_f32_e32 v114, v96, v117
	v_mul_f32_e32 v96, 0xbf75a155, v39
	v_add_f32_e32 v116, v95, v116
	v_mov_b32_e32 v95, v41
	v_add_f32_e32 v118, v118, v122
	v_add_f32_e32 v120, v120, v124
	;; [unrolled: 1-line block ×3, first 2 shown]
	v_mov_b32_e32 v115, v96
	v_fmac_f32_e32 v96, 0xbe903f40, v40
	v_fmac_f32_e32 v95, 0x3ed4b147, v38
	v_mul_f32_e32 v39, 0x3ed4b147, v39
	v_add_f32_e32 v123, v123, v127
	v_add_f32_e32 v125, v125, v129
	v_add_f32_e32 v117, v96, v118
	v_add_f32_e32 v118, v95, v120
	v_mov_b32_e32 v95, v39
	v_add_f32_e32 v119, v119, v123
	v_add_f32_e32 v121, v121, v125
	v_fmac_f32_e32 v115, 0x3e903f40, v40
	v_fmac_f32_e32 v95, 0xbf68dda4, v40
	v_fma_f32 v38, v38, s2, -v41
	v_fmac_f32_e32 v39, 0x3f68dda4, v40
	v_add_f32_e32 v123, v45, v55
	v_sub_f32_e32 v55, v55, v45
	v_add_f32_e32 v115, v115, v119
	v_add_f32_e32 v119, v95, v121
	;; [unrolled: 1-line block ×5, first 2 shown]
	v_sub_f32_e32 v54, v54, v44
	v_mul_f32_e32 v38, 0xbe903f40, v55
	v_mul_f32_e32 v39, 0xbf75a155, v123
	v_mov_b32_e32 v36, v38
	v_mov_b32_e32 v37, v39
	v_fma_f32 v38, v122, s10, -v38
	v_fmac_f32_e32 v39, 0xbe903f40, v54
	v_mul_f32_e32 v40, 0x3f0a6770, v55
	v_mul_f32_e32 v41, 0x3f575c64, v123
	;; [unrolled: 1-line block ×3, first 2 shown]
	v_add_f32_e32 v95, v38, v42
	v_add_f32_e32 v96, v39, v46
	v_mov_b32_e32 v38, v40
	v_mov_b32_e32 v39, v41
	;; [unrolled: 1-line block ×3, first 2 shown]
	v_fmac_f32_e32 v38, 0x3f575c64, v122
	v_fmac_f32_e32 v39, 0xbf0a6770, v54
	v_fma_f32 v40, v122, s8, -v40
	v_fmac_f32_e32 v42, 0xbf27a4f4, v122
	v_fmac_f32_e32 v36, 0xbf75a155, v122
	;; [unrolled: 1-line block ×3, first 2 shown]
	v_add_f32_e32 v38, v38, v49
	v_add_f32_e32 v39, v39, v52
	;; [unrolled: 1-line block ×3, first 2 shown]
	v_fmac_f32_e32 v41, 0x3f0a6770, v54
	v_add_f32_e32 v42, v42, v53
	v_mul_f32_e32 v45, 0xbf27a4f4, v123
	v_fma_f32 v44, v122, s9, -v44
	v_mul_f32_e32 v48, 0x3f68dda4, v55
	v_mul_f32_e32 v49, 0x3ed4b147, v123
	;; [unrolled: 1-line block ×4, first 2 shown]
	v_add_f32_e32 v36, v36, v43
	v_add_f32_e32 v37, v37, v47
	;; [unrolled: 1-line block ×3, first 2 shown]
	v_mov_b32_e32 v43, v45
	v_add_f32_e32 v44, v44, v51
	v_mov_b32_e32 v46, v48
	v_mov_b32_e32 v47, v49
	;; [unrolled: 1-line block ×4, first 2 shown]
	v_fmac_f32_e32 v43, 0x3f4178ce, v54
	v_fmac_f32_e32 v45, 0xbf4178ce, v54
	;; [unrolled: 1-line block ×4, first 2 shown]
	v_fma_f32 v48, v122, s2, -v48
	v_fmac_f32_e32 v49, 0x3f68dda4, v54
	v_fmac_f32_e32 v50, 0xbe11bafb, v122
	;; [unrolled: 1-line block ×3, first 2 shown]
	v_fma_f32 v52, v122, s3, -v52
	v_fmac_f32_e32 v53, 0xbf7d64f0, v54
	v_add_f32_e32 v43, v43, v102
	v_add_f32_e32 v45, v45, v105
	;; [unrolled: 1-line block ×10, first 2 shown]
	s_waitcnt lgkmcnt(0)
	; wave barrier
	ds_write2_b64 v103, v[112:113], v[36:37] offset1:1
	ds_write2_b64 v103, v[38:39], v[42:43] offset0:2 offset1:3
	ds_write2_b64 v103, v[46:47], v[50:51] offset0:4 offset1:5
	;; [unrolled: 1-line block ×4, first 2 shown]
	ds_write_b64 v103, v[95:96] offset:80
	v_add_u32_e32 v36, 0x400, v100
	s_waitcnt lgkmcnt(0)
	; wave barrier
	s_waitcnt lgkmcnt(0)
	ds_read2_b64 v[46:49], v100 offset0:176 offset1:208
	ds_read2_b64 v[42:45], v100 offset0:32 offset1:64
	;; [unrolled: 1-line block ×4, first 2 shown]
	ds_read_b64 v[50:51], v101
	ds_read_b64 v[40:41], v100 offset:2432
	s_and_saveexec_b64 s[2:3], vcc
	s_cbranch_execz .LBB0_11
; %bb.10:
	ds_read_b64 v[95:96], v97 offset:1280
	ds_read_b64 v[28:29], v100 offset:2688
.LBB0_11:
	s_or_b64 exec, exec, s[2:3]
	s_waitcnt lgkmcnt(5)
	v_mul_f32_e32 v102, v80, v47
	v_fmac_f32_e32 v102, v79, v46
	v_mul_f32_e32 v46, v80, v46
	v_fma_f32 v46, v79, v47, -v46
	v_mul_f32_e32 v47, v82, v49
	v_fmac_f32_e32 v47, v81, v48
	v_mul_f32_e32 v48, v82, v48
	v_fma_f32 v48, v81, v49, -v48
	s_waitcnt lgkmcnt(3)
	v_mul_f32_e32 v49, v84, v37
	v_fmac_f32_e32 v49, v83, v36
	v_mul_f32_e32 v36, v84, v36
	v_fma_f32 v81, v83, v37, -v36
	v_mul_f32_e32 v82, v86, v39
	v_mul_f32_e32 v36, v86, v38
	s_waitcnt lgkmcnt(0)
	v_mul_f32_e32 v86, v90, v29
	v_fmac_f32_e32 v82, v85, v38
	v_fma_f32 v83, v85, v39, -v36
	v_mul_f32_e32 v84, v88, v41
	v_mul_f32_e32 v36, v88, v40
	v_fmac_f32_e32 v86, v89, v28
	v_mul_f32_e32 v28, v90, v28
	v_sub_f32_e32 v37, v43, v48
	v_sub_f32_e32 v48, v44, v49
	;; [unrolled: 1-line block ×3, first 2 shown]
	v_fmac_f32_e32 v84, v87, v40
	v_fma_f32 v85, v87, v41, -v36
	v_fma_f32 v29, v89, v29, -v28
	v_sub_f32_e32 v40, v50, v102
	v_sub_f32_e32 v41, v51, v46
	v_fma_f32 v38, v44, 2.0, -v48
	v_fma_f32 v39, v45, 2.0, -v49
	v_sub_f32_e32 v44, v52, v82
	v_sub_f32_e32 v45, v53, v83
	v_fma_f32 v79, v50, 2.0, -v40
	v_fma_f32 v80, v51, 2.0, -v41
	v_sub_f32_e32 v36, v42, v47
	v_fma_f32 v50, v52, 2.0, -v44
	v_fma_f32 v51, v53, 2.0, -v45
	v_sub_f32_e32 v52, v54, v84
	v_sub_f32_e32 v53, v55, v85
	;; [unrolled: 1-line block ×4, first 2 shown]
	v_fma_f32 v42, v42, 2.0, -v36
	v_fma_f32 v43, v43, 2.0, -v37
	;; [unrolled: 1-line block ×6, first 2 shown]
	s_waitcnt lgkmcnt(0)
	; wave barrier
	ds_write2_b64 v106, v[79:80], v[40:41] offset1:11
	ds_write2_b64 v107, v[42:43], v[36:37] offset1:11
	;; [unrolled: 1-line block ×5, first 2 shown]
	s_and_saveexec_b64 s[2:3], vcc
	s_cbranch_execz .LBB0_13
; %bb.12:
	v_add_u32_sdwa v81, v110, v104 dst_sel:DWORD dst_unused:UNUSED_PAD src0_sel:DWORD src1_sel:BYTE_0
	v_lshl_add_u32 v81, v81, 3, v98
	ds_write2_b64 v81, v[54:55], v[28:29] offset1:11
.LBB0_13:
	s_or_b64 exec, exec, s[2:3]
	s_waitcnt lgkmcnt(0)
	; wave barrier
	s_waitcnt lgkmcnt(0)
	s_and_saveexec_b64 s[2:3], s[0:1]
	s_cbranch_execz .LBB0_15
; %bb.14:
	ds_read2_b64 v[40:43], v100 offset0:22 offset1:44
	ds_read2_b64 v[36:39], v100 offset0:66 offset1:88
	;; [unrolled: 1-line block ×5, first 2 shown]
	v_add_u32_e32 v28, 0x400, v100
	v_add_u32_e32 v32, 0x800, v100
	ds_read2_b64 v[28:31], v28 offset0:114 offset1:136
	ds_read2_b64 v[32:35], v32 offset0:30 offset1:52
	ds_read_b64 v[79:80], v101
	ds_read_b64 v[93:94], v100 offset:2640
.LBB0_15:
	s_or_b64 exec, exec, s[2:3]
	s_and_saveexec_b64 s[2:3], s[0:1]
	s_cbranch_execz .LBB0_17
; %bb.16:
	s_waitcnt lgkmcnt(6)
	v_mul_f32_e32 v83, v15, v51
	v_mul_f32_e32 v15, v15, v50
	v_fmac_f32_e32 v83, v14, v50
	s_waitcnt lgkmcnt(2)
	v_mul_f32_e32 v84, v27, v35
	v_fma_f32 v14, v14, v51, -v15
	v_mul_f32_e32 v15, v27, v34
	v_mul_f32_e32 v27, v1, v45
	;; [unrolled: 1-line block ×3, first 2 shown]
	v_fmac_f32_e32 v27, v0, v44
	v_fma_f32 v44, v0, v45, -v1
	s_waitcnt lgkmcnt(0)
	v_mul_f32_e32 v0, v92, v93
	v_mul_f32_e32 v81, v11, v42
	;; [unrolled: 1-line block ×3, first 2 shown]
	v_fma_f32 v0, v91, v94, -v0
	v_fma_f32 v81, v10, v43, -v81
	v_mul_f32_e32 v82, v23, v54
	v_fmac_f32_e32 v11, v10, v42
	v_mul_f32_e32 v10, v23, v55
	v_mul_f32_e32 v23, v5, v36
	v_sub_f32_e32 v45, v44, v0
	v_mul_f32_e32 v5, v5, v37
	v_mul_f32_e32 v0, v17, v29
	v_fmac_f32_e32 v84, v26, v34
	v_fma_f32 v15, v26, v35, -v15
	v_mul_f32_e32 v26, v17, v28
	v_fmac_f32_e32 v5, v4, v36
	v_fmac_f32_e32 v0, v16, v28
	v_fma_f32 v26, v16, v29, -v26
	v_mul_f32_e32 v50, v13, v49
	v_sub_f32_e32 v16, v5, v0
	v_mul_f32_e32 v0, v13, v48
	v_fmac_f32_e32 v50, v12, v48
	v_fma_f32 v12, v12, v49, -v0
	v_mul_f32_e32 v0, v25, v32
	v_fma_f32 v0, v24, v33, -v0
	v_mul_f32_e32 v42, v9, v40
	v_sub_f32_e32 v13, v12, v0
	v_mul_f32_e32 v9, v9, v41
	v_mul_f32_e32 v0, v21, v53
	;; [unrolled: 1-line block ×3, first 2 shown]
	v_fmac_f32_e32 v9, v8, v40
	v_fmac_f32_e32 v0, v20, v52
	v_mul_f32_e32 v86, v3, v46
	v_mul_f32_e32 v87, v7, v39
	;; [unrolled: 1-line block ×3, first 2 shown]
	v_fma_f32 v43, v20, v53, -v43
	v_sub_f32_e32 v20, v9, v0
	v_mul_f32_e32 v0, v7, v38
	v_fma_f32 v86, v2, v47, -v86
	v_fmac_f32_e32 v87, v6, v38
	v_fmac_f32_e32 v88, v18, v30
	v_mul_f32_e32 v51, v25, v33
	v_fma_f32 v6, v6, v39, -v0
	v_mul_f32_e32 v0, v19, v30
	v_fma_f32 v82, v22, v55, -v82
	v_sub_f32_e32 v86, v80, v86
	v_sub_f32_e32 v88, v87, v88
	v_mul_f32_e32 v34, v92, v94
	v_fma_f32 v42, v8, v41, -v42
	v_fmac_f32_e32 v51, v24, v32
	v_fma_f32 v0, v18, v31, -v0
	v_sub_f32_e32 v82, v81, v82
	v_sub_f32_e32 v84, v83, v84
	;; [unrolled: 1-line block ×3, first 2 shown]
	v_fmac_f32_e32 v10, v22, v54
	v_fma_f32 v23, v4, v37, -v23
	v_fmac_f32_e32 v34, v91, v93
	v_sub_f32_e32 v43, v42, v43
	v_sub_f32_e32 v51, v50, v51
	;; [unrolled: 1-line block ×3, first 2 shown]
	v_mul_f32_e32 v0, v3, v47
	v_sub_f32_e32 v85, v82, v84
	v_mov_b32_e32 v90, v89
	v_sub_f32_e32 v15, v14, v15
	v_sub_f32_e32 v10, v11, v10
	;; [unrolled: 1-line block ×5, first 2 shown]
	v_fmac_f32_e32 v0, v2, v46
	v_fma_f32 v18, v80, 2.0, -v86
	v_fma_f32 v6, v6, 2.0, -v7
	v_fmac_f32_e32 v90, 0x3f3504f3, v85
	v_add_f32_e32 v22, v15, v10
	v_sub_f32_e32 v35, v26, v34
	v_mov_b32_e32 v55, v54
	v_add_f32_e32 v21, v13, v20
	v_sub_f32_e32 v2, v79, v0
	v_sub_f32_e32 v28, v18, v6
	v_fma_f32 v29, v11, 2.0, -v10
	v_fma_f32 v6, v83, 2.0, -v84
	v_fmac_f32_e32 v90, 0xbf3504f3, v22
	v_fmac_f32_e32 v55, 0x3f3504f3, v35
	v_add_f32_e32 v17, v45, v16
	v_mov_b32_e32 v24, v21
	v_add_f32_e32 v19, v7, v2
	v_sub_f32_e32 v30, v29, v6
	v_fma_f32 v6, v12, 2.0, -v13
	v_fma_f32 v13, v5, 2.0, -v16
	;; [unrolled: 1-line block ×3, first 2 shown]
	v_fmac_f32_e32 v55, 0xbf3504f3, v17
	v_fmac_f32_e32 v24, 0x3f3504f3, v17
	v_mov_b32_e32 v25, v19
	v_sub_f32_e32 v27, v13, v5
	v_fma_f32 v23, v23, 2.0, -v26
	v_fma_f32 v5, v44, 2.0, -v45
	v_fma_f32 v16, v16, 2.0, -v17
	v_fma_f32 v17, v89, 2.0, -v90
	v_fmac_f32_e32 v24, 0x3f3504f3, v35
	v_fmac_f32_e32 v25, 0x3f3504f3, v22
	v_sub_f32_e32 v36, v23, v5
	v_fma_f32 v37, v9, 2.0, -v20
	v_fma_f32 v5, v50, 2.0, -v51
	;; [unrolled: 1-line block ×5, first 2 shown]
	v_mov_b32_e32 v18, v17
	v_fmac_f32_e32 v25, 0x3f3504f3, v85
	v_sub_f32_e32 v38, v37, v5
	v_fma_f32 v40, v81, 2.0, -v82
	v_fma_f32 v5, v14, 2.0, -v15
	;; [unrolled: 1-line block ×4, first 2 shown]
	v_fmac_f32_e32 v18, 0xbec3ef15, v22
	v_fma_f32 v21, v21, 2.0, -v24
	v_fma_f32 v32, v42, 2.0, -v43
	v_sub_f32_e32 v14, v40, v5
	v_fma_f32 v15, v79, 2.0, -v2
	v_fma_f32 v5, v87, 2.0, -v88
	;; [unrolled: 1-line block ×3, first 2 shown]
	v_fmac_f32_e32 v18, 0xbf6c835e, v21
	v_fma_f32 v19, v19, 2.0, -v25
	v_mov_b32_e32 v0, v25
	v_sub_f32_e32 v31, v28, v30
	v_sub_f32_e32 v33, v32, v6
	v_sub_f32_e32 v41, v15, v5
	v_fma_f32 v37, v37, 2.0, -v38
	v_fma_f32 v13, v13, 2.0, -v27
	;; [unrolled: 1-line block ×3, first 2 shown]
	v_mov_b32_e32 v17, v19
	v_fmac_f32_e32 v0, 0x3f6c835e, v24
	v_sub_f32_e32 v34, v33, v27
	v_sub_f32_e32 v49, v37, v13
	v_fma_f32 v50, v15, 2.0, -v41
	v_fma_f32 v13, v29, 2.0, -v30
	v_fmac_f32_e32 v17, 0xbec3ef15, v21
	v_fma_f32 v21, v28, 2.0, -v31
	v_fmac_f32_e32 v0, 0x3ec3ef15, v55
	v_add_f32_e32 v39, v36, v38
	v_sub_f32_e32 v29, v50, v13
	v_fma_f32 v13, v23, 2.0, -v36
	v_fmac_f32_e32 v17, 0x3f6c835e, v22
	v_fma_f32 v23, v33, 2.0, -v34
	v_mov_b32_e32 v22, v21
	v_mov_b32_e32 v1, v90
	v_fma_f32 v3, v25, 2.0, -v0
	v_add_f32_e32 v42, v14, v41
	v_fma_f32 v44, v86, 2.0, -v89
	v_mov_b32_e32 v47, v2
	v_fmac_f32_e32 v22, 0xbf3504f3, v23
	v_fma_f32 v25, v38, 2.0, -v39
	v_fmac_f32_e32 v1, 0x3f6c835e, v55
	v_fma_f32 v9, v82, 2.0, -v85
	v_mov_b32_e32 v45, v44
	v_fma_f32 v43, v43, 2.0, -v54
	v_mov_b32_e32 v46, v35
	v_fmac_f32_e32 v47, 0xbf3504f3, v11
	v_fmac_f32_e32 v22, 0xbf3504f3, v25
	v_fma_f32 v27, v41, 2.0, -v42
	v_fmac_f32_e32 v1, 0xbec3ef15, v24
	v_fmac_f32_e32 v45, 0xbf3504f3, v9
	v_mov_b32_e32 v26, v43
	v_fmac_f32_e32 v46, 0xbf3504f3, v16
	v_fmac_f32_e32 v47, 0x3f3504f3, v9
	v_fma_f32 v24, v21, 2.0, -v22
	v_mov_b32_e32 v21, v27
	v_mov_b32_e32 v6, v31
	v_fmac_f32_e32 v45, 0xbf3504f3, v11
	v_fmac_f32_e32 v26, 0xbf3504f3, v12
	;; [unrolled: 1-line block ×3, first 2 shown]
	v_mov_b32_e32 v9, v47
	v_fmac_f32_e32 v21, 0xbf3504f3, v25
	v_fmac_f32_e32 v6, 0x3f3504f3, v34
	;; [unrolled: 1-line block ×3, first 2 shown]
	v_mov_b32_e32 v10, v45
	v_fmac_f32_e32 v9, 0x3ec3ef15, v46
	v_fmac_f32_e32 v21, 0x3f3504f3, v23
	v_fma_f32 v25, v44, 2.0, -v45
	v_fmac_f32_e32 v6, 0xbf3504f3, v39
	v_fmac_f32_e32 v10, 0x3ec3ef15, v26
	;; [unrolled: 1-line block ×3, first 2 shown]
	v_fma_f32 v23, v27, 2.0, -v21
	v_fma_f32 v27, v43, 2.0, -v26
	v_mov_b32_e32 v26, v25
	v_fma_f32 v8, v31, 2.0, -v6
	v_fmac_f32_e32 v26, 0xbf6c835e, v27
	v_fma_f32 v31, v35, 2.0, -v46
	v_fmac_f32_e32 v26, 0xbec3ef15, v31
	v_fma_f32 v2, v2, 2.0, -v47
	v_fma_f32 v28, v25, 2.0, -v26
	v_mov_b32_e32 v25, v2
	v_fma_f32 v14, v40, 2.0, -v14
	v_fma_f32 v30, v32, 2.0, -v33
	v_fmac_f32_e32 v25, 0xbf6c835e, v31
	v_sub_f32_e32 v40, v48, v14
	v_sub_f32_e32 v32, v30, v13
	v_fmac_f32_e32 v25, 0x3ec3ef15, v27
	v_fma_f32 v27, v2, 2.0, -v25
	v_fma_f32 v2, v48, 2.0, -v40
	;; [unrolled: 1-line block ×3, first 2 shown]
	v_add_f32_e32 v13, v29, v32
	v_sub_f32_e32 v30, v2, v30
	v_mov_b32_e32 v5, v42
	v_fma_f32 v15, v29, 2.0, -v13
	v_fma_f32 v32, v2, 2.0, -v30
	v_fma_f32 v2, v50, 2.0, -v29
	v_fma_f32 v29, v37, 2.0, -v49
	v_fmac_f32_e32 v5, 0x3f3504f3, v39
	v_sub_f32_e32 v29, v2, v29
	v_fmac_f32_e32 v5, 0x3f3504f3, v34
	v_fmac_f32_e32 v10, 0xbf6c835e, v46
	v_sub_f32_e32 v14, v40, v49
	v_fma_f32 v31, v2, 2.0, -v29
	v_add_u32_e32 v2, 0x400, v100
	v_fma_f32 v4, v90, 2.0, -v1
	v_fma_f32 v7, v42, 2.0, -v5
	;; [unrolled: 1-line block ×6, first 2 shown]
	ds_write_b64 v101, v[31:32]
	ds_write2_b64 v100, v[27:28], v[23:24] offset0:22 offset1:44
	ds_write2_b64 v100, v[19:20], v[15:16] offset0:66 offset1:88
	;; [unrolled: 1-line block ×6, first 2 shown]
	v_add_u32_e32 v2, 0x800, v100
	ds_write2_b64 v2, v[9:10], v[5:6] offset0:30 offset1:52
	ds_write_b64 v100, v[0:1] offset:2640
.LBB0_17:
	s_or_b64 exec, exec, s[2:3]
	v_mad_u64_u32 v[4:5], s[0:1], s6, v78, 0
	s_waitcnt lgkmcnt(0)
	; wave barrier
	s_waitcnt lgkmcnt(0)
	ds_read_b64 v[0:1], v101
	ds_read_b64 v[6:7], v100 offset:2560
	ds_read_b64 v[14:15], v97 offset:1280
	v_mov_b32_e32 v2, v5
	v_mad_u64_u32 v[2:3], s[0:1], s7, v78, v[2:3]
	s_waitcnt lgkmcnt(2)
	v_mul_f32_e32 v3, v59, v1
	v_fmac_f32_e32 v3, v58, v0
	v_mul_f32_e32 v0, v59, v0
	v_fma_f32 v0, v58, v1, -v0
	v_cvt_f64_f32_e32 v[8:9], v3
	v_cvt_f64_f32_e32 v[0:1], v0
	s_mov_b32 s0, 0x745d1746
	v_mad_u64_u32 v[10:11], s[2:3], s4, v99, 0
	s_mov_b32 s1, 0x3f6745d1
	v_mul_f64 v[8:9], v[8:9], s[0:1]
	v_mul_f64 v[12:13], v[0:1], s[0:1]
	v_mov_b32_e32 v0, v11
	v_mov_b32_e32 v5, v2
	v_mad_u64_u32 v[16:17], s[2:3], s5, v99, v[0:1]
	ds_read2_b64 v[0:3], v100 offset0:32 offset1:64
	v_lshlrev_b64 v[4:5], 3, v[4:5]
	v_cvt_f32_f64_e32 v8, v[8:9]
	v_cvt_f32_f64_e32 v9, v[12:13]
	v_mov_b32_e32 v11, v16
	s_waitcnt lgkmcnt(0)
	v_mul_f32_e32 v12, v77, v1
	v_fmac_f32_e32 v12, v76, v0
	v_mul_f32_e32 v0, v77, v0
	v_fma_f32 v0, v76, v1, -v0
	v_cvt_f64_f32_e32 v[12:13], v12
	v_cvt_f64_f32_e32 v[0:1], v0
	v_mov_b32_e32 v16, s13
	v_add_co_u32_e32 v17, vcc, s12, v4
	v_addc_co_u32_e32 v16, vcc, v16, v5, vcc
	v_mul_f64 v[4:5], v[12:13], s[0:1]
	v_mul_f64 v[0:1], v[0:1], s[0:1]
	v_lshlrev_b64 v[10:11], 3, v[10:11]
	s_lshl_b64 s[2:3], s[4:5], 8
	v_add_co_u32_e32 v10, vcc, v17, v10
	v_addc_co_u32_e32 v11, vcc, v16, v11, vcc
	v_cvt_f32_f64_e32 v4, v[4:5]
	v_cvt_f32_f64_e32 v5, v[0:1]
	v_mul_f32_e32 v0, v71, v3
	v_fmac_f32_e32 v0, v70, v2
	v_cvt_f64_f32_e32 v[0:1], v0
	v_mul_f32_e32 v2, v71, v2
	v_fma_f32 v2, v70, v3, -v2
	v_cvt_f64_f32_e32 v[2:3], v2
	global_store_dwordx2 v[10:11], v[8:9], off
	v_mul_f64 v[8:9], v[0:1], s[0:1]
	v_mov_b32_e32 v16, s3
	v_mul_f64 v[12:13], v[2:3], s[0:1]
	ds_read2_b64 v[0:3], v100 offset0:96 offset1:128
	v_add_co_u32_e32 v10, vcc, s2, v10
	v_addc_co_u32_e32 v11, vcc, v11, v16, vcc
	global_store_dwordx2 v[10:11], v[4:5], off
	v_cvt_f32_f64_e32 v4, v[8:9]
	s_waitcnt lgkmcnt(0)
	v_mul_f32_e32 v8, v57, v1
	v_fmac_f32_e32 v8, v56, v0
	v_cvt_f64_f32_e32 v[8:9], v8
	v_mul_f32_e32 v0, v57, v0
	v_fma_f32 v0, v56, v1, -v0
	v_cvt_f64_f32_e32 v[0:1], v0
	v_mul_f64 v[8:9], v[8:9], s[0:1]
	v_cvt_f32_f64_e32 v5, v[12:13]
	v_mul_f32_e32 v12, v73, v3
	v_fmac_f32_e32 v12, v72, v2
	v_mul_f64 v[0:1], v[0:1], s[0:1]
	v_cvt_f64_f32_e32 v[12:13], v12
	v_mul_f32_e32 v2, v73, v2
	v_fma_f32 v2, v72, v3, -v2
	v_add_co_u32_e32 v10, vcc, s2, v10
	v_cvt_f64_f32_e32 v[2:3], v2
	v_addc_co_u32_e32 v11, vcc, v11, v16, vcc
	global_store_dwordx2 v[10:11], v[4:5], off
	v_cvt_f32_f64_e32 v4, v[8:9]
	v_mul_f64 v[8:9], v[12:13], s[0:1]
	v_mul_f64 v[2:3], v[2:3], s[0:1]
	v_cvt_f32_f64_e32 v5, v[0:1]
	v_add_co_u32_e32 v10, vcc, s2, v10
	v_mul_f32_e32 v0, v61, v15
	v_addc_co_u32_e32 v11, vcc, v11, v16, vcc
	v_fmac_f32_e32 v0, v60, v14
	global_store_dwordx2 v[10:11], v[4:5], off
	v_cvt_f32_f64_e32 v4, v[8:9]
	v_cvt_f64_f32_e32 v[8:9], v0
	v_mul_f32_e32 v0, v61, v14
	v_fma_f32 v0, v60, v15, -v0
	v_cvt_f32_f64_e32 v5, v[2:3]
	v_cvt_f64_f32_e32 v[12:13], v0
	ds_read2_b64 v[0:3], v100 offset0:192 offset1:224
	v_mul_f64 v[8:9], v[8:9], s[0:1]
	v_add_co_u32_e32 v10, vcc, s2, v10
	v_mul_f64 v[12:13], v[12:13], s[0:1]
	s_waitcnt lgkmcnt(0)
	v_mul_f32_e32 v14, v75, v1
	v_fmac_f32_e32 v14, v74, v0
	v_mul_f32_e32 v0, v75, v0
	v_fma_f32 v0, v74, v1, -v0
	v_cvt_f64_f32_e32 v[0:1], v0
	v_cvt_f64_f32_e32 v[14:15], v14
	v_addc_co_u32_e32 v11, vcc, v11, v16, vcc
	v_mul_f64 v[0:1], v[0:1], s[0:1]
	global_store_dwordx2 v[10:11], v[4:5], off
	v_cvt_f32_f64_e32 v4, v[8:9]
	v_mul_f64 v[8:9], v[14:15], s[0:1]
	v_cvt_f32_f64_e32 v5, v[12:13]
	v_add_co_u32_e32 v10, vcc, s2, v10
	v_addc_co_u32_e32 v11, vcc, v11, v16, vcc
	global_store_dwordx2 v[10:11], v[4:5], off
	v_cvt_f32_f64_e32 v5, v[0:1]
	v_mul_f32_e32 v0, v63, v3
	v_fmac_f32_e32 v0, v62, v2
	v_cvt_f32_f64_e32 v4, v[8:9]
	v_cvt_f64_f32_e32 v[8:9], v0
	v_mul_f32_e32 v0, v63, v2
	v_fma_f32 v0, v62, v3, -v0
	v_cvt_f64_f32_e32 v[12:13], v0
	v_add_u32_e32 v0, 0x800, v100
	ds_read2_b64 v[0:3], v0 offset1:32
	v_mul_f64 v[8:9], v[8:9], s[0:1]
	v_mul_f64 v[12:13], v[12:13], s[0:1]
	v_add_co_u32_e32 v10, vcc, s2, v10
	s_waitcnt lgkmcnt(0)
	v_mul_f32_e32 v14, v69, v1
	v_fmac_f32_e32 v14, v68, v0
	v_mul_f32_e32 v0, v69, v0
	v_fma_f32 v0, v68, v1, -v0
	v_cvt_f64_f32_e32 v[0:1], v0
	v_cvt_f64_f32_e32 v[14:15], v14
	v_addc_co_u32_e32 v11, vcc, v11, v16, vcc
	v_mul_f64 v[0:1], v[0:1], s[0:1]
	global_store_dwordx2 v[10:11], v[4:5], off
	v_cvt_f32_f64_e32 v4, v[8:9]
	v_mul_f64 v[8:9], v[14:15], s[0:1]
	v_cvt_f32_f64_e32 v5, v[12:13]
	v_add_co_u32_e32 v10, vcc, s2, v10
	v_addc_co_u32_e32 v11, vcc, v11, v16, vcc
	global_store_dwordx2 v[10:11], v[4:5], off
	v_cvt_f32_f64_e32 v5, v[0:1]
	v_mul_f32_e32 v0, v65, v3
	v_fmac_f32_e32 v0, v64, v2
	v_mul_f32_e32 v2, v65, v2
	v_fma_f32 v2, v64, v3, -v2
	v_cvt_f64_f32_e32 v[0:1], v0
	v_cvt_f64_f32_e32 v[2:3], v2
	v_cvt_f32_f64_e32 v4, v[8:9]
	v_add_co_u32_e32 v8, vcc, s2, v10
	v_mul_f32_e32 v10, v67, v7
	v_fmac_f32_e32 v10, v66, v6
	v_mul_f32_e32 v6, v67, v6
	v_fma_f32 v6, v66, v7, -v6
	v_addc_co_u32_e32 v9, vcc, v11, v16, vcc
	v_mul_f64 v[0:1], v[0:1], s[0:1]
	v_mul_f64 v[2:3], v[2:3], s[0:1]
	v_cvt_f64_f32_e32 v[10:11], v10
	v_cvt_f64_f32_e32 v[6:7], v6
	global_store_dwordx2 v[8:9], v[4:5], off
	v_mul_f64 v[4:5], v[10:11], s[0:1]
	v_mul_f64 v[6:7], v[6:7], s[0:1]
	v_cvt_f32_f64_e32 v0, v[0:1]
	v_cvt_f32_f64_e32 v1, v[2:3]
	v_add_co_u32_e32 v2, vcc, s2, v8
	v_addc_co_u32_e32 v3, vcc, v9, v16, vcc
	global_store_dwordx2 v[2:3], v[0:1], off
	v_cvt_f32_f64_e32 v0, v[4:5]
	v_cvt_f32_f64_e32 v1, v[6:7]
	v_add_co_u32_e32 v2, vcc, s2, v2
	v_addc_co_u32_e32 v3, vcc, v3, v16, vcc
	global_store_dwordx2 v[2:3], v[0:1], off
.LBB0_18:
	s_endpgm
	.section	.rodata,"a",@progbits
	.p2align	6, 0x0
	.amdhsa_kernel bluestein_single_fwd_len352_dim1_sp_op_CI_CI
		.amdhsa_group_segment_fixed_size 5632
		.amdhsa_private_segment_fixed_size 0
		.amdhsa_kernarg_size 104
		.amdhsa_user_sgpr_count 6
		.amdhsa_user_sgpr_private_segment_buffer 1
		.amdhsa_user_sgpr_dispatch_ptr 0
		.amdhsa_user_sgpr_queue_ptr 0
		.amdhsa_user_sgpr_kernarg_segment_ptr 1
		.amdhsa_user_sgpr_dispatch_id 0
		.amdhsa_user_sgpr_flat_scratch_init 0
		.amdhsa_user_sgpr_private_segment_size 0
		.amdhsa_uses_dynamic_stack 0
		.amdhsa_system_sgpr_private_segment_wavefront_offset 0
		.amdhsa_system_sgpr_workgroup_id_x 1
		.amdhsa_system_sgpr_workgroup_id_y 0
		.amdhsa_system_sgpr_workgroup_id_z 0
		.amdhsa_system_sgpr_workgroup_info 0
		.amdhsa_system_vgpr_workitem_id 0
		.amdhsa_next_free_vgpr 142
		.amdhsa_next_free_sgpr 20
		.amdhsa_reserve_vcc 1
		.amdhsa_reserve_flat_scratch 0
		.amdhsa_float_round_mode_32 0
		.amdhsa_float_round_mode_16_64 0
		.amdhsa_float_denorm_mode_32 3
		.amdhsa_float_denorm_mode_16_64 3
		.amdhsa_dx10_clamp 1
		.amdhsa_ieee_mode 1
		.amdhsa_fp16_overflow 0
		.amdhsa_exception_fp_ieee_invalid_op 0
		.amdhsa_exception_fp_denorm_src 0
		.amdhsa_exception_fp_ieee_div_zero 0
		.amdhsa_exception_fp_ieee_overflow 0
		.amdhsa_exception_fp_ieee_underflow 0
		.amdhsa_exception_fp_ieee_inexact 0
		.amdhsa_exception_int_div_zero 0
	.end_amdhsa_kernel
	.text
.Lfunc_end0:
	.size	bluestein_single_fwd_len352_dim1_sp_op_CI_CI, .Lfunc_end0-bluestein_single_fwd_len352_dim1_sp_op_CI_CI
                                        ; -- End function
	.section	.AMDGPU.csdata,"",@progbits
; Kernel info:
; codeLenInByte = 11132
; NumSgprs: 24
; NumVgprs: 142
; ScratchSize: 0
; MemoryBound: 0
; FloatMode: 240
; IeeeMode: 1
; LDSByteSize: 5632 bytes/workgroup (compile time only)
; SGPRBlocks: 2
; VGPRBlocks: 35
; NumSGPRsForWavesPerEU: 24
; NumVGPRsForWavesPerEU: 142
; Occupancy: 1
; WaveLimiterHint : 1
; COMPUTE_PGM_RSRC2:SCRATCH_EN: 0
; COMPUTE_PGM_RSRC2:USER_SGPR: 6
; COMPUTE_PGM_RSRC2:TRAP_HANDLER: 0
; COMPUTE_PGM_RSRC2:TGID_X_EN: 1
; COMPUTE_PGM_RSRC2:TGID_Y_EN: 0
; COMPUTE_PGM_RSRC2:TGID_Z_EN: 0
; COMPUTE_PGM_RSRC2:TIDIG_COMP_CNT: 0
	.type	__hip_cuid_f3b0e8ad66d67244,@object ; @__hip_cuid_f3b0e8ad66d67244
	.section	.bss,"aw",@nobits
	.globl	__hip_cuid_f3b0e8ad66d67244
__hip_cuid_f3b0e8ad66d67244:
	.byte	0                               ; 0x0
	.size	__hip_cuid_f3b0e8ad66d67244, 1

	.ident	"AMD clang version 19.0.0git (https://github.com/RadeonOpenCompute/llvm-project roc-6.4.0 25133 c7fe45cf4b819c5991fe208aaa96edf142730f1d)"
	.section	".note.GNU-stack","",@progbits
	.addrsig
	.addrsig_sym __hip_cuid_f3b0e8ad66d67244
	.amdgpu_metadata
---
amdhsa.kernels:
  - .args:
      - .actual_access:  read_only
        .address_space:  global
        .offset:         0
        .size:           8
        .value_kind:     global_buffer
      - .actual_access:  read_only
        .address_space:  global
        .offset:         8
        .size:           8
        .value_kind:     global_buffer
      - .actual_access:  read_only
        .address_space:  global
        .offset:         16
        .size:           8
        .value_kind:     global_buffer
      - .actual_access:  read_only
        .address_space:  global
        .offset:         24
        .size:           8
        .value_kind:     global_buffer
      - .actual_access:  read_only
        .address_space:  global
        .offset:         32
        .size:           8
        .value_kind:     global_buffer
      - .offset:         40
        .size:           8
        .value_kind:     by_value
      - .address_space:  global
        .offset:         48
        .size:           8
        .value_kind:     global_buffer
      - .address_space:  global
        .offset:         56
        .size:           8
        .value_kind:     global_buffer
      - .address_space:  global
        .offset:         64
        .size:           8
        .value_kind:     global_buffer
      - .address_space:  global
        .offset:         72
        .size:           8
        .value_kind:     global_buffer
      - .offset:         80
        .size:           4
        .value_kind:     by_value
      - .address_space:  global
        .offset:         88
        .size:           8
        .value_kind:     global_buffer
      - .address_space:  global
        .offset:         96
        .size:           8
        .value_kind:     global_buffer
    .group_segment_fixed_size: 5632
    .kernarg_segment_align: 8
    .kernarg_segment_size: 104
    .language:       OpenCL C
    .language_version:
      - 2
      - 0
    .max_flat_workgroup_size: 64
    .name:           bluestein_single_fwd_len352_dim1_sp_op_CI_CI
    .private_segment_fixed_size: 0
    .sgpr_count:     24
    .sgpr_spill_count: 0
    .symbol:         bluestein_single_fwd_len352_dim1_sp_op_CI_CI.kd
    .uniform_work_group_size: 1
    .uses_dynamic_stack: false
    .vgpr_count:     142
    .vgpr_spill_count: 0
    .wavefront_size: 64
amdhsa.target:   amdgcn-amd-amdhsa--gfx906
amdhsa.version:
  - 1
  - 2
...

	.end_amdgpu_metadata
